;; amdgpu-corpus repo=ROCm/rocFFT kind=compiled arch=gfx950 opt=O3
	.text
	.amdgcn_target "amdgcn-amd-amdhsa--gfx950"
	.amdhsa_code_object_version 6
	.protected	bluestein_single_back_len3840_dim1_sp_op_CI_CI ; -- Begin function bluestein_single_back_len3840_dim1_sp_op_CI_CI
	.globl	bluestein_single_back_len3840_dim1_sp_op_CI_CI
	.p2align	8
	.type	bluestein_single_back_len3840_dim1_sp_op_CI_CI,@function
bluestein_single_back_len3840_dim1_sp_op_CI_CI: ; @bluestein_single_back_len3840_dim1_sp_op_CI_CI
; %bb.0:
	s_load_dwordx4 s[16:19], s[0:1], 0x28
	v_mov_b32_e32 v230, v0
	s_mov_b32 s3, 0
	s_waitcnt lgkmcnt(0)
	v_mov_b32_e32 v0, s16
	v_mov_b32_e32 v1, s17
	v_cmp_lt_u64_e32 vcc, s[2:3], v[0:1]
	s_and_saveexec_b64 s[4:5], vcc
	s_cbranch_execz .LBB0_2
; %bb.1:
	s_load_dwordx4 s[4:7], s[0:1], 0x18
	s_load_dwordx4 s[8:11], s[0:1], 0x0
	v_mov_b64_e32 v[6:7], s[2:3]
	v_accvgpr_write_b32 a0, v6
	v_mov_b32_e32 v0, s18
	s_waitcnt lgkmcnt(0)
	s_load_dwordx4 s[12:15], s[4:5], 0x0
	v_mov_b32_e32 v1, s19
	v_mov_b32_e32 v32, 0xc00
	v_lshlrev_b32_e32 v96, 3, v230
	global_load_dwordx2 v[30:31], v96, s[8:9]
	global_load_dwordx2 v[58:59], v96, s[8:9] offset:3072
	s_waitcnt lgkmcnt(0)
	v_mad_u64_u32 v[2:3], s[4:5], s14, v6, 0
	v_mov_b32_e32 v4, v3
	v_mad_u64_u32 v[4:5], s[4:5], s15, v6, v[4:5]
	v_mov_b32_e32 v3, v4
	;; [unrolled: 2-line block ×4, first 2 shown]
	v_lshl_add_u64 v[0:1], v[2:3], 3, v[0:1]
	v_lshl_add_u64 v[0:1], v[4:5], 3, v[0:1]
	global_load_dwordx2 v[4:5], v[0:1], off
	v_mad_u64_u32 v[0:1], s[4:5], s12, v32, v[0:1]
	s_mul_i32 s14, s13, 0xc00
	v_add_u32_e32 v1, s14, v1
	v_mad_u64_u32 v[2:3], s[4:5], s12, v32, v[0:1]
	v_add_u32_e32 v3, s14, v3
	v_mad_u64_u32 v[12:13], s[4:5], s12, v32, v[2:3]
	;; [unrolled: 2-line block ×3, first 2 shown]
	v_add_u32_e32 v17, s14, v17
	global_load_dwordx2 v[14:15], v[0:1], off
	global_load_dwordx2 v[10:11], v[2:3], off
	;; [unrolled: 1-line block ×4, first 2 shown]
	v_mad_u64_u32 v[0:1], s[4:5], s12, v32, v[16:17]
	v_add_u32_e32 v1, s14, v1
	v_or_b32_e32 v55, 0x300, v230
	global_load_dwordx2 v[16:17], v[0:1], off
	v_mad_u64_u32 v[0:1], s[4:5], s12, v32, v[0:1]
	v_lshlrev_b32_e32 v68, 3, v55
	v_or_b32_e32 v51, 0x480, v230
	v_or_b32_e32 v53, 0x600, v230
	v_add_u32_e32 v1, s14, v1
	v_lshlrev_b32_e32 v70, 3, v51
	v_lshlrev_b32_e32 v72, 3, v53
	v_or_b32_e32 v73, 0x3c00, v96
	global_load_dwordx2 v[62:63], v68, s[8:9]
	global_load_dwordx2 v[60:61], v70, s[8:9]
	;; [unrolled: 1-line block ×4, first 2 shown]
	global_load_dwordx2 v[18:19], v[0:1], off
	v_mad_u64_u32 v[0:1], s[4:5], s12, v32, v[0:1]
	v_add_u32_e32 v1, s14, v1
	global_load_dwordx2 v[20:21], v[0:1], off
	v_mad_u64_u32 v[0:1], s[4:5], s12, v32, v[0:1]
	v_add_u32_e32 v1, s14, v1
	global_load_dwordx2 v[22:23], v[0:1], off
	v_mad_u64_u32 v[0:1], s[4:5], s12, v32, v[0:1]
	v_or_b32_e32 v66, 0x4800, v96
	v_or_b32_e32 v67, 0x5400, v96
	v_add_u32_e32 v1, s14, v1
	v_mov_b32_e32 v2, 0xffff9800
	global_load_dwordx2 v[56:57], v66, s[8:9]
	global_load_dwordx2 v[48:49], v67, s[8:9]
	global_load_dwordx2 v[24:25], v[0:1], off
	v_mad_u64_u32 v[0:1], s[4:5], s12, v2, v[0:1]
	s_add_u32 s2, s8, 0x7800
	s_mul_i32 s4, s13, 0xffff9800
	s_addc_u32 s3, s9, 0
	s_sub_i32 s13, s4, s12
	v_or_b32_e32 v69, 0x6000, v96
	v_add_u32_e32 v1, s13, v1
	v_or_b32_e32 v71, 0x6c00, v96
	global_load_dwordx2 v[44:45], v69, s[8:9]
	global_load_dwordx2 v[38:39], v71, s[8:9]
	global_load_dwordx2 v[26:27], v[0:1], off
	global_load_dwordx2 v[40:41], v96, s[8:9] offset:1024
	v_or_b32_e32 v97, 0x200, v230
	v_mad_u64_u32 v[0:1], s[4:5], s12, v32, v[0:1]
	v_add_u32_e32 v1, s14, v1
	v_lshlrev_b32_e32 v74, 3, v97
	global_load_dwordx2 v[28:29], v[0:1], off
	global_load_dwordx2 v[42:43], v74, s[8:9]
	v_or_b32_e32 v50, 0x380, v230
	v_mad_u64_u32 v[0:1], s[4:5], s12, v32, v[0:1]
	v_add_u32_e32 v1, s14, v1
	v_lshlrev_b32_e32 v76, 3, v50
	global_load_dwordx2 v[36:37], v76, s[8:9]
	global_load_dwordx2 v[98:99], v96, s[8:9] offset:2048
	global_load_dwordx2 v[2:3], v[0:1], off
	s_waitcnt vmcnt(26)
	v_mov_b64_e32 v[12:13], v[30:31]
	v_accvgpr_write_b32 a61, v13
	v_accvgpr_write_b32 a60, v12
	v_or_b32_e32 v92, 0x500, v230
	v_mad_u64_u32 v[0:1], s[16:17], s12, v32, v[0:1]
	v_lshlrev_b32_e32 v91, 3, v92
	s_waitcnt vmcnt(24)
	v_mul_f32_e32 v30, v5, v13
	v_fmac_f32_e32 v30, v4, v12
	v_mul_f32_e32 v4, v4, v13
	v_fma_f32 v31, v5, v12, -v4
	v_or_b32_e32 v95, 0x680, v230
	v_add_u32_e32 v1, s14, v1
	s_load_dwordx4 s[4:7], s[6:7], 0x0
	v_lshlrev_b32_e32 v88, 3, v95
	v_mov_b32_e32 v33, 0xffff9800
	v_or_b32_e32 v79, 0x4000, v96
	v_or_b32_e32 v89, 0x4c00, v96
	s_waitcnt vmcnt(23)
	v_mul_f32_e32 v12, v15, v59
	v_mul_f32_e32 v4, v14, v59
	v_fmac_f32_e32 v12, v14, v58
	v_fma_f32 v13, v15, v58, -v4
	v_or_b32_e32 v90, 0x5800, v96
	v_or_b32_e32 v80, 0x6400, v96
	;; [unrolled: 1-line block ×4, first 2 shown]
	v_lshlrev_b32_e32 v81, 3, v103
	v_or_b32_e32 v93, 0x400, v230
	v_lshlrev_b32_e32 v85, 3, v93
	v_or_b32_e32 v94, 0x580, v230
	;; [unrolled: 2-line block ×3, first 2 shown]
	v_accvgpr_write_b32 a58, v58
	s_waitcnt vmcnt(18)
	v_mul_f32_e32 v14, v11, v63
	v_mul_f32_e32 v4, v10, v63
	v_fmac_f32_e32 v14, v10, v62
	v_fma_f32 v15, v11, v62, -v4
	s_waitcnt vmcnt(17)
	v_mul_f32_e32 v10, v9, v61
	v_mul_f32_e32 v4, v8, v61
	v_fmac_f32_e32 v10, v8, v60
	v_fma_f32 v11, v9, v60, -v4
	s_waitcnt vmcnt(16)
	v_mov_b64_e32 v[8:9], v[34:35]
	v_mul_f32_e32 v4, v6, v9
	v_fma_f32 v35, v7, v8, -v4
	v_accvgpr_write_b32 a49, v9
	s_waitcnt vmcnt(15)
	v_mul_f32_e32 v4, v16, v47
	v_mul_f32_e32 v34, v7, v9
	v_accvgpr_write_b32 a48, v8
	v_fma_f32 v9, v17, v46, -v4
	v_fmac_f32_e32 v34, v6, v8
	v_mul_f32_e32 v8, v17, v47
	v_fmac_f32_e32 v8, v16, v46
	s_waitcnt vmcnt(11)
	v_mul_f32_e32 v4, v18, v57
	v_fma_f32 v17, v19, v56, -v4
	s_waitcnt vmcnt(10)
	v_mul_f32_e32 v6, v21, v49
	v_mul_f32_e32 v4, v20, v49
	v_fmac_f32_e32 v6, v20, v48
	v_fma_f32 v7, v21, v48, -v4
	v_mul_f32_e32 v16, v19, v57
	v_fmac_f32_e32 v16, v18, v56
	v_accvgpr_write_b32 a44, v46
	v_accvgpr_write_b32 a45, v47
	s_waitcnt vmcnt(8)
	v_mul_f32_e32 v4, v22, v45
	v_fma_f32 v19, v23, v44, -v4
	s_waitcnt vmcnt(5)
	v_mul_f32_e32 v20, v27, v41
	v_mul_f32_e32 v21, v26, v41
	v_fmac_f32_e32 v20, v26, v40
	v_fma_f32 v21, v27, v40, -v21
	v_mul_f32_e32 v4, v25, v39
	v_mul_f32_e32 v5, v24, v39
	ds_write2st64_b64 v96, v[30:31], v[20:21] offset1:2
	v_fmac_f32_e32 v4, v24, v38
	v_fma_f32 v5, v25, v38, -v5
	global_load_dwordx2 v[132:133], v91, s[8:9]
	global_load_dwordx2 v[128:129], v88, s[8:9]
	global_load_dwordx2 v[24:25], v[0:1], off
	v_mad_u64_u32 v[0:1], s[16:17], s12, v32, v[0:1]
	v_add_u32_e32 v1, s14, v1
	global_load_dwordx2 v[26:27], v[0:1], off
	v_mad_u64_u32 v[0:1], s[16:17], s12, v32, v[0:1]
	s_waitcnt vmcnt(7)
	v_mul_f32_e32 v20, v29, v43
	v_mul_f32_e32 v21, v28, v43
	v_add_u32_e32 v1, s14, v1
	v_fmac_f32_e32 v20, v28, v42
	v_fma_f32 v21, v29, v42, -v21
	global_load_dwordx2 v[28:29], v[0:1], off
	v_mad_u64_u32 v[0:1], s[16:17], s12, v32, v[0:1]
	v_add_u32_e32 v1, s14, v1
	v_mul_f32_e32 v18, v23, v45
	global_load_dwordx2 v[30:31], v[0:1], off
	v_mad_u64_u32 v[0:1], s[16:17], s12, v32, v[0:1]
	v_fmac_f32_e32 v18, v22, v44
	s_waitcnt vmcnt(6)
	v_mul_f32_e32 v22, v2, v37
	v_add_u32_e32 v1, s14, v1
	v_fma_f32 v23, v3, v36, -v22
	v_mov_b64_e32 v[134:135], v[36:37]
	global_load_dwordx2 v[36:37], v[0:1], off
	v_mad_u64_u32 v[0:1], s[16:17], s12, v32, v[0:1]
	v_accvgpr_write_b32 a26, v38
	v_add_u32_e32 v1, s14, v1
	v_accvgpr_write_b32 a27, v39
	global_load_dwordx2 v[38:39], v[0:1], off
	v_mad_u64_u32 v[0:1], s[16:17], s12, v32, v[0:1]
	v_accvgpr_write_b32 a22, v40
	v_add_u32_e32 v1, s14, v1
	v_accvgpr_write_b32 a23, v41
	global_load_dwordx2 v[130:131], v79, s[8:9]
	global_load_dwordx2 v[126:127], v89, s[8:9]
	;; [unrolled: 1-line block ×4, first 2 shown]
	global_load_dwordx2 v[40:41], v[0:1], off
	v_mad_u64_u32 v[0:1], s[16:17], s12, v33, v[0:1]
	v_accvgpr_write_b32 a18, v42
	v_add_u32_e32 v1, s13, v1
	v_accvgpr_write_b32 a19, v43
	global_load_dwordx2 v[42:43], v[0:1], off
	v_mad_u64_u32 v[0:1], s[16:17], s12, v32, v[0:1]
	v_accvgpr_write_b32 a32, v44
	v_add_u32_e32 v1, s14, v1
	v_accvgpr_write_b32 a33, v45
	global_load_dwordx2 v[44:45], v[0:1], off
	v_mad_u64_u32 v[0:1], s[16:17], s12, v32, v[0:1]
	v_add_u32_e32 v1, s14, v1
	global_load_dwordx2 v[46:47], v[0:1], off
	v_mad_u64_u32 v[0:1], s[16:17], s12, v32, v[0:1]
	v_accvgpr_write_b32 a36, v48
	v_add_u32_e32 v1, s14, v1
	v_accvgpr_write_b32 a37, v49
	global_load_dwordx2 v[122:123], v75, s[8:9]
	global_load_dwordx2 v[48:49], v[0:1], off
	global_load_dwordx2 v[118:119], v81, s[8:9]
	v_mad_u64_u32 v[0:1], s[16:17], s12, v32, v[0:1]
	v_accvgpr_write_b32 a40, v56
	global_load_dwordx2 v[116:117], v85, s[8:9]
	global_load_dwordx2 v[108:109], v87, s[8:9]
	v_add_u32_e32 v1, s14, v1
	v_accvgpr_write_b32 a41, v57
	global_load_dwordx2 v[56:57], v[0:1], off
	v_mad_u64_u32 v[0:1], s[16:17], s12, v32, v[0:1]
	v_lshlrev_b32_e32 v77, 3, v102
	v_add_u32_e32 v1, s14, v1
	v_accvgpr_write_b32 a59, v59
	global_load_dwordx2 v[58:59], v[0:1], off
	global_load_dwordx2 v[114:115], v77, s[8:9]
	v_mad_u64_u32 v[0:1], s[16:17], s12, v32, v[0:1]
	v_accvgpr_write_b32 a54, v60
	v_add_u32_e32 v1, s14, v1
	v_accvgpr_write_b32 a55, v61
	v_or_b32_e32 v78, 0x4400, v96
	global_load_dwordx2 v[60:61], v[0:1], off
	global_load_dwordx2 v[112:113], v78, s[8:9]
	v_accvgpr_write_b32 a56, v62
	v_or_b32_e32 v84, 0x5000, v96
	v_mad_u64_u32 v[0:1], s[16:17], s12, v32, v[0:1]
	v_accvgpr_write_b32 a57, v63
	v_add_u32_e32 v1, s14, v1
	global_load_dwordx2 v[110:111], v84, s[8:9]
	global_load_dwordx2 v[62:63], v[0:1], off
	v_or_b32_e32 v86, 0x5c00, v96
	global_load_dwordx2 v[106:107], v86, s[8:9]
	v_mad_u64_u32 v[0:1], s[16:17], s12, v32, v[0:1]
	v_add_u32_e32 v1, s14, v1
	v_or_b32_e32 v82, 0x6800, v96
	global_load_dwordx2 v[64:65], v[0:1], off
	global_load_dwordx2 v[104:105], v82, s[8:9]
	v_mad_u64_u32 v[0:1], s[12:13], s12, v32, v[0:1]
	v_add_u32_e32 v1, s14, v1
	v_or_b32_e32 v83, 0x7400, v96
	global_load_dwordx2 v[100:101], v83, s[8:9]
	v_mul_f32_e32 v22, v3, v135
	global_load_dwordx2 v[0:1], v[0:1], off
	v_fmac_f32_e32 v22, v2, v134
	ds_write2st64_b64 v96, v[14:15], v[22:23] offset0:12 offset1:14
	s_waitcnt vmcnt(30)
	v_mul_f32_e32 v2, v25, v133
	v_mul_f32_e32 v3, v24, v133
	v_fmac_f32_e32 v2, v24, v132
	v_fma_f32 v3, v25, v132, -v3
	s_waitcnt vmcnt(29)
	v_mul_f32_e32 v14, v27, v129
	v_mul_f32_e32 v15, v26, v129
	v_fmac_f32_e32 v14, v26, v128
	v_fma_f32 v15, v27, v128, -v15
	;; [unrolled: 5-line block ×3, first 2 shown]
	ds_write2st64_b64 v96, v[16:17], v[22:23] offset0:36 offset1:38
	s_waitcnt vmcnt(21)
	v_mul_f32_e32 v22, v39, v121
	v_mul_f32_e32 v23, v38, v121
	v_fmac_f32_e32 v22, v38, v120
	v_fma_f32 v23, v39, v120, -v23
	ds_write2st64_b64 v96, v[18:19], v[22:23] offset0:48 offset1:50
	s_waitcnt vmcnt(19)
	v_mul_f32_e32 v22, v43, v99
	v_mul_f32_e32 v23, v42, v99
	v_fmac_f32_e32 v22, v42, v98
	v_fma_f32 v23, v43, v98, -v23
	ds_write2st64_b64 v96, v[22:23], v[12:13] offset0:4 offset1:6
	ds_write2st64_b64 v96, v[34:35], v[14:15] offset0:24 offset1:26
	v_mul_f32_e32 v14, v29, v131
	v_mul_f32_e32 v15, v28, v131
	v_fmac_f32_e32 v14, v28, v130
	v_fma_f32 v15, v29, v130, -v15
	v_mul_f32_e32 v16, v37, v125
	v_mul_f32_e32 v17, v36, v125
	v_fmac_f32_e32 v16, v36, v124
	v_fma_f32 v17, v37, v124, -v17
	v_accvgpr_write_b32 a28, v98
	s_waitcnt vmcnt(16)
	v_mul_f32_e32 v18, v41, v123
	s_waitcnt vmcnt(14)
	v_mul_f32_e32 v12, v45, v119
	v_mul_f32_e32 v13, v44, v119
	v_fmac_f32_e32 v12, v44, v118
	v_fma_f32 v13, v45, v118, -v13
	ds_write2st64_b64 v96, v[20:21], v[12:13] offset0:8 offset1:10
	s_waitcnt vmcnt(13)
	v_mul_f32_e32 v12, v47, v117
	v_mul_f32_e32 v13, v46, v117
	v_fmac_f32_e32 v12, v46, v116
	v_fma_f32 v13, v47, v116, -v13
	ds_write2st64_b64 v96, v[12:13], v[10:11] offset0:16 offset1:18
	;; [unrolled: 6-line block ×4, first 2 shown]
	v_mul_f32_e32 v19, v40, v123
	s_waitcnt vmcnt(7)
	v_mul_f32_e32 v2, v59, v113
	v_mul_f32_e32 v3, v58, v113
	v_fmac_f32_e32 v2, v58, v112
	v_fma_f32 v3, v59, v112, -v3
	ds_write2st64_b64 v96, v[14:15], v[2:3] offset0:32 offset1:34
	v_fmac_f32_e32 v18, v40, v122
	s_waitcnt vmcnt(6)
	v_mul_f32_e32 v2, v61, v111
	v_mul_f32_e32 v3, v60, v111
	v_fmac_f32_e32 v2, v60, v110
	v_fma_f32 v3, v61, v110, -v3
	ds_write2st64_b64 v96, v[2:3], v[6:7] offset0:40 offset1:42
	s_waitcnt vmcnt(4)
	v_mul_f32_e32 v2, v63, v107
	v_mul_f32_e32 v3, v62, v107
	v_fmac_f32_e32 v2, v62, v106
	v_fma_f32 v3, v63, v106, -v3
	ds_write2st64_b64 v96, v[16:17], v[2:3] offset0:44 offset1:46
	;; [unrolled: 6-line block ×3, first 2 shown]
	v_fma_f32 v19, v41, v122, -v19
	s_waitcnt vmcnt(0)
	v_mul_f32_e32 v2, v1, v101
	v_fmac_f32_e32 v2, v0, v100
	v_mul_f32_e32 v0, v0, v101
	v_fma_f32 v3, v1, v100, -v0
	ds_write2st64_b64 v96, v[18:19], v[2:3] offset0:56 offset1:58
	s_waitcnt lgkmcnt(0)
	s_barrier
	ds_read2st64_b64 v[6:9], v96 offset1:2
	ds_read2st64_b64 v[2:5], v96 offset0:4 offset1:6
	ds_read2st64_b64 v[14:17], v96 offset0:12 offset1:14
	;; [unrolled: 1-line block ×6, first 2 shown]
	s_waitcnt lgkmcnt(4)
	v_add_f32_e32 v0, v6, v14
	v_add_f32_e32 v35, v7, v15
	v_accvgpr_write_b32 a2, v100
	s_waitcnt lgkmcnt(3)
	v_add_f32_e32 v0, v0, v26
	v_add_f32_e32 v35, v35, v27
	v_accvgpr_write_b32 a29, v99
	v_accvgpr_write_b32 a3, v101
	s_waitcnt lgkmcnt(2)
	v_add_f32_e32 v0, v0, v22
	v_add_f32_e32 v37, v26, v22
	s_waitcnt lgkmcnt(0)
	v_sub_f32_e32 v1, v15, v19
	v_sub_f32_e32 v30, v27, v23
	;; [unrolled: 1-line block ×6, first 2 shown]
	v_add_f32_e32 v56, v35, v23
	v_add_f32_e32 v44, v27, v23
	v_sub_f32_e32 v22, v26, v22
	v_sub_f32_e32 v46, v15, v27
	v_sub_f32_e32 v47, v19, v23
	v_add_f32_e32 v26, v15, v19
	v_sub_f32_e32 v15, v27, v15
	v_sub_f32_e32 v27, v23, v19
	v_add_f32_e32 v23, v8, v16
	ds_read2st64_b64 v[60:63], v96 offset0:28 offset1:30
	ds_read2st64_b64 v[98:101], v96 offset0:40 offset1:42
	v_add_f32_e32 v23, v23, v28
	v_add_f32_e32 v57, v23, v24
	;; [unrolled: 1-line block ×4, first 2 shown]
	v_accvgpr_write_b32 a24, v118
	v_accvgpr_write_b32 a20, v116
	;; [unrolled: 1-line block ×5, first 2 shown]
	v_add_f32_e32 v40, v28, v24
	v_sub_f32_e32 v35, v17, v21
	v_sub_f32_e32 v36, v29, v25
	;; [unrolled: 1-line block ×4, first 2 shown]
	v_add_f32_e32 v48, v29, v25
	v_sub_f32_e32 v23, v28, v24
	v_sub_f32_e32 v28, v17, v29
	;; [unrolled: 1-line block ×3, first 2 shown]
	v_add_f32_e32 v58, v52, v25
	v_add_f32_e32 v52, v17, v21
	;; [unrolled: 1-line block ×5, first 2 shown]
	v_accvgpr_write_b32 a25, v119
	v_accvgpr_write_b32 a21, v117
	;; [unrolled: 1-line block ×5, first 2 shown]
	s_waitcnt lgkmcnt(1)
	v_add_f32_e32 v0, v0, v62
	v_add_f32_e32 v104, v17, v63
	s_waitcnt lgkmcnt(0)
	v_add_f32_e32 v112, v62, v100
	v_sub_f32_e32 v113, v63, v101
	v_sub_f32_e32 v114, v12, v62
	;; [unrolled: 1-line block ×3, first 2 shown]
	v_add_f32_e32 v116, v63, v101
	v_sub_f32_e32 v117, v62, v100
	v_sub_f32_e32 v118, v13, v63
	;; [unrolled: 1-line block ×3, first 2 shown]
	ds_read2st64_b64 v[62:65], v96 offset0:52 offset1:54
	v_add_f32_e32 v31, v14, v18
	v_sub_f32_e32 v14, v14, v18
	v_sub_f32_e32 v39, v20, v24
	v_add_f32_e32 v43, v16, v20
	v_sub_f32_e32 v49, v24, v20
	v_sub_f32_e32 v16, v16, v20
	v_add_f32_e32 v18, v57, v20
	v_add_f32_e32 v20, v2, v10
	v_accvgpr_write_b32 a6, v106
	v_add_f32_e32 v105, v20, v60
	v_add_f32_e32 v20, v3, v11
	v_accvgpr_write_b32 a14, v134
	v_accvgpr_write_b32 a52, v132
	;; [unrolled: 1-line block ×10, first 2 shown]
	v_add_f32_e32 v106, v20, v61
	v_accvgpr_write_b32 a15, v135
	v_accvgpr_write_b32 a53, v133
	;; [unrolled: 1-line block ×9, first 2 shown]
	v_sub_f32_e32 v24, v21, v25
	v_sub_f32_e32 v25, v25, v21
	v_add_f32_e32 v19, v56, v19
	v_add_f32_e32 v17, v58, v21
	;; [unrolled: 1-line block ×3, first 2 shown]
	v_sub_f32_e32 v57, v61, v99
	v_sub_f32_e32 v58, v10, v60
	;; [unrolled: 1-line block ×3, first 2 shown]
	v_add_f32_e32 v121, v61, v99
	v_sub_f32_e32 v20, v60, v98
	v_sub_f32_e32 v21, v11, v61
	;; [unrolled: 1-line block ×3, first 2 shown]
	s_waitcnt lgkmcnt(0)
	v_sub_f32_e32 v123, v13, v65
	v_add_f32_e32 v124, v12, v64
	v_sub_f32_e32 v125, v12, v64
	v_add_f32_e32 v126, v13, v65
	;; [unrolled: 2-line block ×4, first 2 shown]
	v_add_f32_e32 v0, v0, v100
	v_add_f32_e32 v60, v104, v101
	;; [unrolled: 1-line block ×4, first 2 shown]
	v_sub_f32_e32 v130, v64, v100
	v_sub_f32_e32 v131, v100, v64
	;; [unrolled: 1-line block ×8, first 2 shown]
	ds_read2st64_b64 v[10:13], v96 offset0:8 offset1:10
	ds_read2st64_b64 v[98:101], v96 offset0:20 offset1:22
	;; [unrolled: 1-line block ×3, first 2 shown]
	v_add_f32_e32 v0, v0, v64
	v_add_f32_e32 v64, v60, v65
	;; [unrolled: 1-line block ×3, first 2 shown]
	s_waitcnt lgkmcnt(1)
	v_add_f32_e32 v60, v10, v98
	v_add_f32_e32 v108, v12, v100
	v_accvgpr_write_b32 a8, v110
	s_waitcnt lgkmcnt(0)
	v_add_f32_e32 v139, v60, v104
	v_add_f32_e32 v60, v11, v99
	;; [unrolled: 1-line block ×4, first 2 shown]
	v_accvgpr_write_b32 a9, v111
	v_add_f32_e32 v65, v61, v62
	v_add_f32_e32 v140, v60, v105
	ds_read2st64_b64 v[60:63], v96 offset0:44 offset1:46
	v_add_f32_e32 v142, v108, v107
	ds_read2st64_b64 v[108:111], v96 offset0:56 offset1:58
	v_sub_f32_e32 v151, v100, v106
	v_sub_f32_e32 v152, v106, v100
	s_waitcnt lgkmcnt(1)
	v_sub_f32_e32 v150, v107, v63
	v_add_f32_e32 v153, v107, v63
	v_sub_f32_e32 v154, v101, v107
	v_sub_f32_e32 v107, v107, v101
	s_waitcnt lgkmcnt(0)
	v_sub_f32_e32 v157, v101, v111
	v_add_f32_e32 v158, v100, v110
	v_sub_f32_e32 v159, v100, v110
	v_add_f32_e32 v100, v101, v111
	v_add_f32_e32 v101, v139, v60
	;; [unrolled: 1-line block ×4, first 2 shown]
	v_sub_f32_e32 v144, v105, v61
	v_sub_f32_e32 v145, v98, v104
	;; [unrolled: 1-line block ×3, first 2 shown]
	v_add_f32_e32 v147, v105, v61
	v_sub_f32_e32 v148, v99, v105
	v_sub_f32_e32 v105, v105, v99
	;; [unrolled: 1-line block ×3, first 2 shown]
	v_add_f32_e32 v156, v98, v108
	v_sub_f32_e32 v98, v98, v108
	v_add_f32_e32 v99, v99, v109
	v_add_f32_e32 v141, v142, v63
	v_sub_f32_e32 v142, v108, v60
	v_sub_f32_e32 v160, v60, v108
	;; [unrolled: 1-line block ×6, first 2 shown]
	v_add_f32_e32 v101, v101, v108
	v_add_f32_e32 v108, v139, v109
	;; [unrolled: 1-line block ×3, first 2 shown]
	v_fma_f32 v110, -0.5, v112, v4
	v_add_f32_e32 v143, v104, v60
	v_sub_f32_e32 v104, v104, v60
	v_fmamk_f32 v60, v123, 0x3f737871, v110
	v_fma_f32 v112, -0.5, v116, v5
	v_add_f32_e32 v41, v41, v42
	v_add_f32_e32 v42, v46, v47
	;; [unrolled: 1-line block ×3, first 2 shown]
	v_fmac_f32_e32 v60, 0x3f167918, v113
	v_fmamk_f32 v61, v125, 0xbf737871, v112
	v_fma_f32 v37, -0.5, v37, v6
	v_fma_f32 v44, -0.5, v44, v7
	v_fma_f32 v31, -0.5, v31, v6
	v_add_f32_e32 v6, v15, v27
	v_fma_f32 v15, -0.5, v26, v7
	v_add_f32_e32 v47, v118, v132
	v_fmac_f32_e32 v60, 0x3e9e377a, v46
	v_fmac_f32_e32 v61, 0xbf167918, v117
	v_fmamk_f32 v118, v1, 0x3f737871, v37
	v_fmamk_f32 v130, v14, 0xbf737871, v44
	;; [unrolled: 1-line block ×3, first 2 shown]
	v_fmac_f32_e32 v15, 0xbf737871, v22
	v_fma_f32 v4, -0.5, v124, v4
	v_fmac_f32_e32 v61, 0x3e9e377a, v47
	v_mul_f32_e32 v114, 0x3f4f1bbd, v60
	v_mul_f32_e32 v116, 0xbf167918, v60
	v_fmac_f32_e32 v118, 0x3f167918, v30
	v_fmac_f32_e32 v130, 0xbf167918, v22
	v_mul_u32_u24_e32 v132, 10, v230
	v_fmac_f32_e32 v26, 0xbf167918, v14
	v_fmac_f32_e32 v15, 0x3f167918, v14
	v_fmamk_f32 v7, v113, 0xbf737871, v4
	v_fmac_f32_e32 v4, 0x3f737871, v113
	v_fma_f32 v5, -0.5, v126, v5
	v_fmac_f32_e32 v114, 0x3f167918, v61
	v_fmac_f32_e32 v116, 0x3f4f1bbd, v61
	;; [unrolled: 1-line block ×4, first 2 shown]
	v_lshlrev_b32_e32 v167, 3, v132
	v_fmac_f32_e32 v26, 0x3e9e377a, v6
	v_fmac_f32_e32 v15, 0x3e9e377a, v6
	v_add_f32_e32 v6, v115, v131
	v_fmac_f32_e32 v7, 0x3f167918, v123
	v_fmac_f32_e32 v4, 0xbf167918, v123
	v_fmamk_f32 v27, v117, 0x3f737871, v5
	v_fmac_f32_e32 v5, 0xbf737871, v117
	v_fma_f32 v132, -0.5, v158, v12
	v_fmac_f32_e32 v110, 0xbf737871, v123
	v_add_f32_e32 v149, v106, v62
	v_sub_f32_e32 v106, v106, v62
	v_sub_f32_e32 v165, v111, v63
	;; [unrolled: 1-line block ×3, first 2 shown]
	v_add_f32_e32 v60, v54, v0
	v_add_f32_e32 v62, v118, v114
	;; [unrolled: 1-line block ×5, first 2 shown]
	v_fmamk_f32 v34, v30, 0xbf737871, v31
	v_fmac_f32_e32 v31, 0x3f737871, v30
	v_fmac_f32_e32 v7, 0x3e9e377a, v6
	;; [unrolled: 1-line block ×3, first 2 shown]
	v_add_f32_e32 v6, v119, v133
	v_fmac_f32_e32 v27, 0xbf167918, v125
	v_fmac_f32_e32 v5, 0x3f167918, v125
	v_fma_f32 v119, -0.5, v153, v13
	v_fmac_f32_e32 v13, -0.5, v100
	v_fmamk_f32 v133, v150, 0xbf737871, v132
	v_fmac_f32_e32 v132, 0x3f737871, v150
	v_fmac_f32_e32 v110, 0xbf167918, v113
	v_fmac_f32_e32 v112, 0x3f737871, v125
	s_barrier
	ds_write_b128 v167, v[60:63]
	v_fmac_f32_e32 v34, 0x3f167918, v1
	v_fmac_f32_e32 v31, 0xbf167918, v1
	;; [unrolled: 1-line block ×4, first 2 shown]
	v_mul_f32_e32 v61, 0xbf737871, v7
	v_add_f32_e32 v115, v152, v164
	v_fmac_f32_e32 v132, 0xbf167918, v157
	v_fmamk_f32 v139, v106, 0x3f737871, v13
	v_fmac_f32_e32 v13, 0xbf737871, v106
	v_fmac_f32_e32 v37, 0xbf737871, v1
	;; [unrolled: 1-line block ×6, first 2 shown]
	v_mul_f32_e32 v33, 0x3f737871, v27
	v_fmac_f32_e32 v61, 0x3e9e377a, v27
	v_mul_f32_e32 v27, 0xbe9e377a, v4
	v_mul_f32_e32 v63, 0xbe9e377a, v5
	v_add_f32_e32 v107, v107, v166
	v_fma_f32 v99, -0.5, v99, v11
	v_fmac_f32_e32 v132, 0x3e9e377a, v115
	v_fmac_f32_e32 v13, 0x3f167918, v159
	;; [unrolled: 1-line block ×4, first 2 shown]
	v_mul_f32_e32 v1, 0xbf4f1bbd, v110
	v_fmac_f32_e32 v33, 0x3e9e377a, v7
	v_fmac_f32_e32 v27, 0x3f737871, v5
	;; [unrolled: 1-line block ×3, first 2 shown]
	v_fma_f32 v100, -0.5, v156, v10
	v_fmac_f32_e32 v13, 0x3e9e377a, v107
	v_mul_f32_e32 v140, 0xbe9e377a, v132
	v_fmac_f32_e32 v37, 0x3e9e377a, v41
	v_fmac_f32_e32 v1, 0x3f167918, v112
	;; [unrolled: 1-line block ×3, first 2 shown]
	v_add_f32_e32 v14, v29, v25
	v_fmamk_f32 v25, v104, 0x3f737871, v99
	v_fmac_f32_e32 v99, 0xbf737871, v104
	v_add_f32_e32 v111, v141, v111
	v_add_f32_e32 v4, v34, v33
	;; [unrolled: 1-line block ×5, first 2 shown]
	v_fma_f32 v124, -0.5, v143, v10
	v_fmac_f32_e32 v140, 0x3f737871, v13
	v_mul_f32_e32 v141, 0xbe9e377a, v13
	v_add_f32_e32 v10, v37, v1
	v_sub_f32_e32 v62, v37, v1
	v_sub_f32_e32 v13, v19, v64
	v_fmac_f32_e32 v44, 0x3f167918, v22
	v_fma_f32 v1, -0.5, v48, v9
	v_fmac_f32_e32 v9, -0.5, v52
	v_add_f32_e32 v19, v105, v162
	v_fmamk_f32 v22, v144, 0xbf737871, v100
	v_fmac_f32_e32 v100, 0x3f737871, v144
	v_fmac_f32_e32 v99, 0x3f167918, v98
	ds_write_b128 v167, v[4:7] offset:16
	v_sub_f32_e32 v7, v26, v61
	v_sub_f32_e32 v61, v15, v63
	v_add_f32_e32 v15, v146, v160
	v_fmac_f32_e32 v100, 0xbf167918, v155
	v_fmac_f32_e32 v99, 0x3e9e377a, v19
	v_fmamk_f32 v30, v23, 0x3f737871, v9
	v_fmac_f32_e32 v9, 0xbf737871, v23
	v_sub_f32_e32 v60, v31, v27
	v_fmac_f32_e32 v100, 0x3e9e377a, v15
	v_mul_f32_e32 v27, 0xbe9e377a, v99
	v_fmac_f32_e32 v9, 0x3f167918, v16
	v_fma_f32 v131, -0.5, v149, v12
	v_sub_f32_e32 v12, v54, v0
	v_mul_f32_e32 v0, 0xbf4f1bbd, v112
	v_fmac_f32_e32 v27, 0xbf737871, v100
	v_fma_f32 v29, -0.5, v40, v8
	v_fma_f32 v8, -0.5, v43, v8
	v_fmac_f32_e32 v9, 0x3e9e377a, v14
	v_fmac_f32_e32 v44, 0x3e9e377a, v42
	;; [unrolled: 1-line block ×3, first 2 shown]
	v_add_f32_e32 v41, v9, v27
	v_sub_f32_e32 v43, v9, v27
	v_fmamk_f32 v9, v36, 0xbf737871, v8
	v_fmac_f32_e32 v8, 0x3f737871, v36
	v_fma_f32 v126, -0.5, v147, v11
	v_add_f32_e32 v11, v44, v0
	v_sub_f32_e32 v63, v44, v0
	v_add_f32_e32 v0, v45, v49
	v_mul_f32_e32 v26, 0xbe9e377a, v100
	v_fmac_f32_e32 v8, 0xbf167918, v35
	v_fmac_f32_e32 v26, 0x3f737871, v99
	;; [unrolled: 1-line block ×3, first 2 shown]
	v_add_f32_e32 v40, v8, v26
	v_sub_f32_e32 v42, v8, v26
	v_fmamk_f32 v26, v35, 0x3f737871, v29
	v_fmac_f32_e32 v29, 0xbf737871, v35
	v_add_f32_e32 v8, v38, v39
	v_fmac_f32_e32 v26, 0x3f167918, v36
	v_fmac_f32_e32 v29, 0xbf167918, v36
	;; [unrolled: 1-line block ×5, first 2 shown]
	v_fmamk_f32 v8, v155, 0x3f737871, v124
	v_fmac_f32_e32 v124, 0xbf737871, v155
	v_fmac_f32_e32 v22, 0x3f167918, v155
	;; [unrolled: 1-line block ×3, first 2 shown]
	v_add_f32_e32 v0, v145, v142
	v_fmac_f32_e32 v8, 0x3f167918, v144
	v_fmac_f32_e32 v124, 0xbf167918, v144
	;; [unrolled: 1-line block ×3, first 2 shown]
	v_fmamk_f32 v15, v98, 0xbf737871, v126
	v_fmac_f32_e32 v126, 0x3f737871, v98
	v_fmac_f32_e32 v8, 0x3e9e377a, v0
	;; [unrolled: 1-line block ×3, first 2 shown]
	v_add_f32_e32 v0, v148, v161
	v_fmac_f32_e32 v15, 0xbf167918, v104
	v_fmac_f32_e32 v126, 0x3f167918, v104
	;; [unrolled: 1-line block ×6, first 2 shown]
	v_mul_f32_e32 v0, 0x3f4f1bbd, v8
	v_fmac_f32_e32 v0, 0x3f167918, v15
	v_mul_f32_e32 v19, 0x3f737871, v25
	v_sub_f32_e32 v6, v34, v33
	v_fmac_f32_e32 v19, 0x3e9e377a, v22
	v_sub_f32_e32 v34, v26, v0
	v_add_f32_e32 v48, v26, v0
	v_mul_f32_e32 v0, 0xbf4f1bbd, v124
	v_add_f32_e32 v38, v9, v19
	v_sub_f32_e32 v36, v9, v19
	v_fmac_f32_e32 v0, 0x3f167918, v126
	v_fmamk_f32 v9, v16, 0xbf737871, v1
	v_fmac_f32_e32 v1, 0x3f737871, v16
	v_add_f32_e32 v98, v29, v0
	v_sub_f32_e32 v44, v29, v0
	v_add_f32_e32 v0, v28, v24
	v_fmac_f32_e32 v9, 0xbf167918, v23
	v_fmac_f32_e32 v1, 0x3f167918, v23
	v_mul_f32_e32 v8, 0xbf167918, v8
	v_fmac_f32_e32 v9, 0x3e9e377a, v0
	v_fmac_f32_e32 v1, 0x3e9e377a, v0
	v_mul_f32_e32 v0, 0xbf4f1bbd, v126
	v_fmac_f32_e32 v8, 0x3f4f1bbd, v15
	v_fmac_f32_e32 v0, 0xbf167918, v124
	v_add_f32_e32 v49, v9, v8
	v_sub_f32_e32 v35, v9, v8
	v_fmac_f32_e32 v30, 0xbf167918, v16
	v_mul_f32_e32 v8, 0xbf737871, v22
	v_add_f32_e32 v99, v1, v0
	v_sub_f32_e32 v45, v1, v0
	v_fma_f32 v1, -0.5, v121, v3
	v_fmac_f32_e32 v3, -0.5, v129
	v_add_f32_e32 v46, v18, v101
	v_sub_f32_e32 v100, v18, v101
	v_fmac_f32_e32 v30, 0x3e9e377a, v14
	v_fmac_f32_e32 v8, 0x3e9e377a, v25
	v_fmamk_f32 v18, v20, 0x3f737871, v3
	v_fmac_f32_e32 v3, 0xbf737871, v20
	v_add_f32_e32 v39, v30, v8
	v_sub_f32_e32 v37, v30, v8
	v_add_f32_e32 v8, v122, v137
	v_fmac_f32_e32 v3, 0x3f167918, v56
	v_fmac_f32_e32 v141, 0xbf737871, v132
	v_fma_f32 v9, -0.5, v59, v2
	v_fma_f32 v2, -0.5, v128, v2
	v_fmac_f32_e32 v3, 0x3e9e377a, v8
	v_add_f32_e32 v47, v17, v108
	v_sub_f32_e32 v101, v17, v108
	v_add_f32_e32 v17, v3, v141
	v_sub_f32_e32 v23, v3, v141
	v_fmamk_f32 v3, v57, 0xbf737871, v2
	v_fmac_f32_e32 v2, 0x3f737871, v57
	v_add_f32_e32 v0, v120, v135
	v_fmac_f32_e32 v2, 0xbf167918, v127
	v_fmac_f32_e32 v2, 0x3e9e377a, v0
	v_fmamk_f32 v15, v127, 0x3f737871, v9
	v_fmac_f32_e32 v9, 0xbf737871, v127
	v_add_f32_e32 v16, v2, v140
	v_sub_f32_e32 v22, v2, v140
	v_add_f32_e32 v2, v58, v134
	v_fmac_f32_e32 v15, 0x3f167918, v57
	v_fmac_f32_e32 v9, 0xbf167918, v57
	;; [unrolled: 1-line block ×5, first 2 shown]
	v_fmamk_f32 v2, v157, 0x3f737871, v131
	v_fmac_f32_e32 v131, 0xbf737871, v157
	v_fmac_f32_e32 v3, 0x3e9e377a, v0
	v_add_f32_e32 v0, v151, v163
	v_fmac_f32_e32 v2, 0x3f167918, v150
	v_fmac_f32_e32 v131, 0xbf167918, v150
	v_fmamk_f32 v19, v159, 0xbf737871, v119
	v_fmac_f32_e32 v119, 0x3f737871, v159
	v_fmac_f32_e32 v2, 0x3e9e377a, v0
	;; [unrolled: 1-line block ×3, first 2 shown]
	v_add_f32_e32 v0, v154, v165
	v_fmac_f32_e32 v19, 0xbf167918, v106
	v_fmac_f32_e32 v119, 0x3f167918, v106
	;; [unrolled: 1-line block ×7, first 2 shown]
	v_mul_f32_e32 v0, 0x3f4f1bbd, v2
	v_fmac_f32_e32 v133, 0x3e9e377a, v115
	v_fmac_f32_e32 v0, 0x3f167918, v19
	v_mul_f32_e32 v24, 0x3f737871, v139
	v_fmac_f32_e32 v24, 0x3e9e377a, v133
	v_sub_f32_e32 v26, v15, v0
	v_add_f32_e32 v108, v15, v0
	v_mul_f32_e32 v0, 0xbf4f1bbd, v131
	v_add_f32_e32 v14, v3, v24
	v_sub_f32_e32 v28, v3, v24
	v_fmac_f32_e32 v0, 0x3f167918, v119
	v_fmamk_f32 v3, v56, 0xbf737871, v1
	v_fmac_f32_e32 v1, 0x3f737871, v56
	v_add_f32_e32 v110, v9, v0
	v_sub_f32_e32 v24, v9, v0
	v_add_f32_e32 v0, v21, v136
	v_fmac_f32_e32 v3, 0xbf167918, v20
	v_fmac_f32_e32 v1, 0x3f167918, v20
	;; [unrolled: 1-line block ×5, first 2 shown]
	v_mul_f32_e32 v0, 0xbf737871, v133
	v_fmac_f32_e32 v18, 0x3e9e377a, v8
	v_fmac_f32_e32 v0, 0x3e9e377a, v139
	v_add_f32_e32 v15, v18, v0
	v_sub_f32_e32 v29, v18, v0
	v_mul_f32_e32 v0, 0xbf4f1bbd, v119
	v_or_b32_e32 v54, 0x80, v230
	v_fmac_f32_e32 v0, 0xbf167918, v131
	v_add_f32_e32 v107, v138, v111
	v_sub_f32_e32 v113, v138, v111
	v_mul_f32_e32 v2, 0xbf167918, v2
	v_or_b32_e32 v104, 0x100, v230
	v_add_f32_e32 v111, v1, v0
	v_sub_f32_e32 v25, v1, v0
	v_mul_u32_u24_e32 v0, 10, v54
	v_fmac_f32_e32 v2, 0x3f4f1bbd, v19
	v_lshlrev_b32_e32 v33, 3, v0
	v_mul_u32_u24_e32 v0, 10, v104
	v_add_f32_e32 v106, v65, v109
	v_sub_f32_e32 v112, v65, v109
	v_add_f32_e32 v109, v3, v2
	v_lshlrev_b32_e32 v0, 3, v0
	v_sub_f32_e32 v4, v118, v114
	v_sub_f32_e32 v5, v130, v116
	;; [unrolled: 1-line block ×3, first 2 shown]
	ds_write_b128 v167, v[10:13] offset:32
	ds_write_b128 v167, v[4:7] offset:48
	;; [unrolled: 1-line block ×3, first 2 shown]
	ds_write_b128 v33, v[46:49]
	ds_write_b128 v33, v[38:41] offset:16
	ds_write_b128 v33, v[98:101] offset:32
	;; [unrolled: 1-line block ×4, first 2 shown]
	ds_write_b128 v0, v[106:109]
	ds_write_b128 v0, v[14:17] offset:16
	ds_write_b128 v0, v[110:113] offset:32
	;; [unrolled: 1-line block ×4, first 2 shown]
	v_accvgpr_write_b32 a62, v0
	v_mul_lo_u16_e32 v0, 0x67, v230
	v_lshrrev_b16_e32 v60, 10, v0
	v_mul_lo_u16_e32 v0, 10, v60
	v_sub_u16_e32 v0, v230, v0
	v_and_b32_e32 v61, 0xff, v0
	v_mad_u64_u32 v[38:39], s[8:9], v61, 40, s[10:11]
	s_waitcnt lgkmcnt(0)
	s_barrier
	global_load_dwordx4 v[174:177], v[38:39], off
	v_mul_lo_u16_e32 v0, 0xcd, v54
	v_lshrrev_b16_e32 v58, 11, v0
	v_mul_lo_u16_e32 v0, 10, v58
	v_sub_u16_e32 v0, v54, v0
	v_and_b32_e32 v59, 0xff, v0
	v_mad_u64_u32 v[0:1], s[8:9], v59, 40, s[10:11]
	v_mul_u32_u24_e32 v2, 0x199a, v104
	global_load_dwordx4 v[194:197], v[0:1], off
	global_load_dwordx4 v[152:155], v[38:39], off offset:16
	global_load_dwordx4 v[148:151], v[0:1], off offset:16
	v_lshrrev_b32_e32 v56, 16, v2
	v_mul_lo_u16_e32 v2, 10, v56
	v_mov_b32_e32 v231, 0
	v_sub_u16_e32 v57, v104, v2
	v_mul_lo_u16_e32 v2, 40, v57
	v_mov_b32_e32 v3, v231
	v_lshl_add_u64 v[2:3], s[10:11], 0, v[2:3]
	global_load_dwordx4 v[214:217], v[2:3], off
	global_load_dwordx4 v[98:101], v[2:3], off offset:16
	global_load_dwordx2 v[10:11], v[0:1], off offset:32
	global_load_dwordx2 v[12:13], v[2:3], off offset:32
	v_or_b32_e32 v52, 0x180, v230
	v_mul_u32_u24_e32 v0, 0x199a, v52
	v_lshrrev_b32_e32 v62, 16, v0
	v_mul_lo_u16_e32 v0, 10, v62
	v_sub_u16_e32 v63, v52, v0
	v_mul_lo_u16_e32 v0, 40, v63
	v_mov_b32_e32 v1, v231
	v_lshl_add_u64 v[0:1], s[10:11], 0, v[0:1]
	global_load_dwordx4 v[26:29], v[0:1], off
	global_load_dwordx4 v[204:207], v[0:1], off offset:16
	v_mul_u32_u24_e32 v2, 0x199a, v97
	v_lshrrev_b32_e32 v64, 16, v2
	v_mul_lo_u16_e32 v2, 10, v64
	v_sub_u16_e32 v65, v97, v2
	v_mul_lo_u16_e32 v2, 40, v65
	v_mov_b32_e32 v3, v231
	v_lshl_add_u64 v[2:3], s[10:11], 0, v[2:3]
	global_load_dwordx4 v[34:37], v[2:3], off
	ds_read2st64_b64 v[40:43], v96 offset0:20 offset1:22
	ds_read2st64_b64 v[44:47], v96 offset0:40 offset1:42
	;; [unrolled: 1-line block ×4, first 2 shown]
	global_load_dwordx2 v[14:15], v[38:39], off offset:32
	global_load_dwordx2 v[30:31], v[2:3], off offset:32
	;; [unrolled: 1-line block ×3, first 2 shown]
	ds_read2st64_b64 v[144:147], v96 offset0:56 offset1:58
	v_accvgpr_write_b32 a1, v167
	s_movk_i32 s8, 0x78
	s_movk_i32 s12, 0xff88
	s_mov_b32 s13, -1
	v_cmp_gt_u32_e32 vcc, s8, v230
	s_mov_b64 s[14:15], 0x1e0
	s_mov_b32 s18, 0xbe9e377a
	s_mov_b32 s16, 0xbf4f1bbd
	s_load_dwordx2 s[0:1], s[0:1], 0x38
	s_waitcnt vmcnt(13) lgkmcnt(0)
	v_mul_f32_e32 v4, v41, v177
	v_mul_f32_e32 v5, v40, v177
	v_fma_f32 v4, v40, v176, -v4
	v_fmac_f32_e32 v5, v41, v176
	global_load_dwordx4 v[38:41], v[2:3], off offset:16
	s_waitcnt vmcnt(13)
	v_mul_f32_e32 v6, v43, v197
	v_fma_f32 v127, v42, v196, -v6
	v_mul_f32_e32 v130, v42, v197
	s_waitcnt vmcnt(12)
	v_mul_f32_e32 v6, v45, v155
	v_mul_f32_e32 v7, v44, v155
	v_fmac_f32_e32 v130, v43, v196
	v_fma_f32 v6, v44, v154, -v6
	v_fmac_f32_e32 v7, v45, v154
	ds_read2st64_b64 v[42:45], v96 offset0:52 offset1:54
	s_waitcnt vmcnt(10)
	v_mul_f32_e32 v0, v109, v215
	v_fma_f32 v113, v108, v214, -v0
	v_mul_f32_e32 v0, v117, v149
	v_mul_f32_e32 v8, v47, v151
	;; [unrolled: 1-line block ×3, first 2 shown]
	v_fma_f32 v139, v116, v148, -v0
	s_waitcnt vmcnt(9)
	v_mul_f32_e32 v0, v119, v99
	v_fma_f32 v133, v46, v150, -v8
	v_fmac_f32_e32 v136, v47, v150
	v_fma_f32 v122, v118, v98, -v0
	s_waitcnt vmcnt(8) lgkmcnt(0)
	v_mul_f32_e32 v0, v43, v11
	ds_read2st64_b64 v[46:49], v96 offset0:24 offset1:26
	v_fma_f32 v141, v42, v10, -v0
	v_mul_f32_e32 v142, v42, v11
	s_waitcnt vmcnt(7)
	v_mul_f32_e32 v0, v45, v13
	v_mul_f32_e32 v126, v44, v13
	v_fmac_f32_e32 v142, v43, v10
	v_fma_f32 v124, v44, v12, -v0
	v_fmac_f32_e32 v126, v45, v12
	ds_read2st64_b64 v[42:45], v96 offset0:44 offset1:46
	s_waitcnt lgkmcnt(1)
	v_mul_f32_e32 v0, v47, v217
	v_mul_f32_e32 v140, v116, v149
	v_fma_f32 v131, v46, v216, -v0
	v_mul_f32_e32 v135, v46, v217
	s_waitcnt vmcnt(6)
	v_mul_f32_e32 v0, v49, v29
	v_mul_f32_e32 v116, v48, v29
	v_fmac_f32_e32 v135, v47, v216
	v_fma_f32 v114, v48, v28, -v0
	v_fmac_f32_e32 v116, v49, v28
	s_waitcnt lgkmcnt(0)
	v_mul_f32_e32 v0, v43, v101
	ds_read2st64_b64 v[46:49], v96 offset0:16 offset1:18
	v_mul_f32_e32 v123, v118, v99
	v_fma_f32 v137, v42, v100, -v0
	v_mul_f32_e32 v138, v42, v101
	s_waitcnt vmcnt(5)
	v_mul_f32_e32 v0, v45, v207
	v_mul_f32_e32 v118, v44, v207
	v_fmac_f32_e32 v140, v117, v148
	v_fmac_f32_e32 v138, v43, v100
	v_fma_f32 v117, v44, v206, -v0
	v_fmac_f32_e32 v118, v45, v206
	ds_read2st64_b64 v[42:45], v96 offset0:28 offset1:30
	s_waitcnt lgkmcnt(1)
	v_mul_f32_e32 v0, v47, v27
	v_fma_f32 v111, v46, v26, -v0
	s_waitcnt vmcnt(4)
	v_mul_f32_e32 v0, v49, v35
	v_mul_f32_e32 v112, v46, v27
	v_fma_f32 v105, v48, v34, -v0
	s_waitcnt lgkmcnt(0)
	v_mul_f32_e32 v0, v45, v153
	v_mul_f32_e32 v1, v44, v153
	v_fmac_f32_e32 v112, v47, v26
	v_fma_f32 v0, v44, v152, -v0
	v_fmac_f32_e32 v1, v45, v152
	ds_read2st64_b64 v[44:47], v96 offset0:36 offset1:38
	v_mul_f32_e32 v2, v43, v37
	v_mul_f32_e32 v115, v108, v215
	v_fma_f32 v108, v42, v36, -v2
	v_mul_f32_e32 v110, v42, v37
	s_waitcnt lgkmcnt(0)
	v_mul_f32_e32 v2, v45, v205
	v_mul_f32_e32 v120, v44, v205
	v_fmac_f32_e32 v123, v119, v98
	v_fmac_f32_e32 v110, v43, v36
	v_fma_f32 v119, v44, v204, -v2
	v_fmac_f32_e32 v120, v45, v204
	ds_read2st64_b64 v[42:45], v96 offset0:48 offset1:50
	v_mul_f32_e32 v8, v107, v195
	v_fma_f32 v121, v106, v194, -v8
	v_mul_f32_e32 v129, v106, v195
	v_fmac_f32_e32 v115, v109, v214
	v_mul_f32_e32 v106, v48, v35
	s_waitcnt vmcnt(0)
	v_mul_f32_e32 v2, v47, v39
	v_mul_f32_e32 v109, v46, v39
	v_fmac_f32_e32 v129, v107, v194
	v_fmac_f32_e32 v106, v49, v34
	v_fma_f32 v107, v46, v38, -v2
	v_fmac_f32_e32 v109, v47, v38
	ds_read2st64_b64 v[46:49], v96 offset1:2
	s_waitcnt lgkmcnt(1)
	v_mul_f32_e32 v2, v45, v15
	v_mul_f32_e32 v3, v44, v15
	;; [unrolled: 1-line block ×4, first 2 shown]
	v_fma_f32 v2, v44, v14, -v2
	v_fmac_f32_e32 v3, v45, v14
	v_fma_f32 v125, v42, v40, -v8
	v_fmac_f32_e32 v128, v43, v40
	ds_read2st64_b64 v[42:45], v96 offset0:8 offset1:10
	v_mul_f32_e32 v8, v145, v17
	v_fma_f32 v143, v144, v16, -v8
	v_mul_f32_e32 v8, v147, v31
	v_fma_f32 v132, v146, v30, -v8
	s_waitcnt lgkmcnt(1)
	v_add_f32_e32 v8, v47, v5
	v_accvgpr_write_b32 a65, v11
	v_add_f32_e32 v8, v8, v7
	v_sub_f32_e32 v9, v5, v7
	v_add_f32_e32 v5, v5, v7
	v_add_f32_e32 v7, v46, v4
	v_accvgpr_write_b32 a64, v10
	v_accvgpr_write_b32 a69, v13
	v_add_f32_e32 v7, v7, v6
	v_add_f32_e32 v10, v4, v6
	v_sub_f32_e32 v4, v4, v6
	s_waitcnt lgkmcnt(0)
	v_mul_f32_e32 v6, v45, v175
	v_accvgpr_write_b32 a68, v12
	v_fma_f32 v6, v44, v174, -v6
	v_add_f32_e32 v12, v0, v2
	v_add_f32_e32 v11, v6, v0
	v_fmac_f32_e32 v6, -0.5, v12
	v_mul_f32_e32 v12, v44, v175
	v_accvgpr_write_b32 a67, v15
	v_fmac_f32_e32 v12, v45, v174
	v_accvgpr_write_b32 a66, v14
	v_add_f32_e32 v13, v12, v1
	v_sub_f32_e32 v14, v1, v3
	v_add_f32_e32 v1, v1, v3
	v_fmac_f32_e32 v12, -0.5, v1
	v_sub_f32_e32 v15, v0, v2
	v_mul_f32_e32 v144, v144, v17
	v_accvgpr_write_b32 a71, v17
	v_fmamk_f32 v0, v14, 0x3f5db3d7, v6
	v_fmamk_f32 v1, v15, 0xbf5db3d7, v12
	v_fmac_f32_e32 v144, v145, v16
	v_accvgpr_write_b32 a70, v16
	v_mul_f32_e32 v16, 0x3f5db3d7, v1
	v_mul_f32_e32 v17, 0xbf5db3d7, v0
	v_fma_f32 v10, -0.5, v10, v46
	v_fma_f32 v5, -0.5, v5, v47
	v_add_f32_e32 v13, v13, v3
	v_add_f32_e32 v11, v11, v2
	v_fmac_f32_e32 v16, 0.5, v0
	v_fmac_f32_e32 v17, 0.5, v1
	v_mul_u32_u24_e32 v0, 60, v60
	v_fmamk_f32 v18, v9, 0x3f5db3d7, v10
	v_fmamk_f32 v19, v4, 0xbf5db3d7, v5
	v_add_lshl_u32 v20, v0, v61, 3
	v_add_f32_e32 v0, v7, v11
	v_add_f32_e32 v1, v8, v13
	;; [unrolled: 1-line block ×4, first 2 shown]
	v_fmac_f32_e32 v6, 0xbf5db3d7, v14
	v_fmac_f32_e32 v12, 0x3f5db3d7, v15
	ds_read2st64_b64 v[44:47], v96 offset0:4 offset1:6
	s_waitcnt lgkmcnt(0)
	s_barrier
	ds_write2_b64 v20, v[0:1], v[2:3] offset1:10
	v_sub_f32_e32 v0, v7, v11
	v_fmac_f32_e32 v5, 0x3f5db3d7, v4
	v_mul_f32_e32 v4, -0.5, v6
	v_mul_f32_e32 v7, -0.5, v12
	v_fmac_f32_e32 v10, 0xbf5db3d7, v9
	v_fmac_f32_e32 v4, 0x3f5db3d7, v12
	;; [unrolled: 1-line block ×3, first 2 shown]
	v_sub_f32_e32 v1, v8, v13
	v_add_f32_e32 v2, v10, v4
	v_add_f32_e32 v3, v5, v7
	ds_write2_b64 v20, v[2:3], v[0:1] offset0:20 offset1:30
	v_sub_f32_e32 v0, v18, v16
	v_sub_f32_e32 v1, v19, v17
	;; [unrolled: 1-line block ×4, first 2 shown]
	ds_write2_b64 v20, v[0:1], v[2:3] offset0:40 offset1:50
	v_add_f32_e32 v2, v139, v141
	v_add_f32_e32 v0, v49, v130
	;; [unrolled: 1-line block ×3, first 2 shown]
	v_fmac_f32_e32 v121, -0.5, v2
	v_add_f32_e32 v2, v129, v140
	v_add_f32_e32 v4, v0, v136
	;; [unrolled: 1-line block ×5, first 2 shown]
	v_fmac_f32_e32 v49, -0.5, v0
	v_add_f32_e32 v0, v48, v127
	v_sub_f32_e32 v9, v140, v142
	v_fmac_f32_e32 v129, -0.5, v2
	v_sub_f32_e32 v11, v139, v141
	v_add_f32_e32 v6, v0, v133
	v_add_f32_e32 v0, v127, v133
	;; [unrolled: 1-line block ×3, first 2 shown]
	v_fmamk_f32 v1, v9, 0x3f5db3d7, v121
	v_fmamk_f32 v2, v11, 0xbf5db3d7, v129
	v_sub_f32_e32 v5, v130, v136
	v_sub_f32_e32 v7, v127, v133
	v_mul_f32_e32 v12, 0x3f5db3d7, v2
	v_mul_f32_e32 v13, 0xbf5db3d7, v1
	v_fma_f32 v14, -0.5, v0, v48
	v_fmac_f32_e32 v12, 0.5, v1
	v_fmac_f32_e32 v13, 0.5, v2
	v_mul_u32_u24_e32 v1, 60, v58
	v_fmamk_f32 v15, v5, 0x3f5db3d7, v14
	v_fmamk_f32 v16, v7, 0xbf5db3d7, v49
	v_add_lshl_u32 v17, v1, v59, 3
	v_add_f32_e32 v0, v6, v10
	v_add_f32_e32 v1, v4, v8
	;; [unrolled: 1-line block ×4, first 2 shown]
	v_fmac_f32_e32 v121, 0xbf5db3d7, v9
	v_fmac_f32_e32 v129, 0x3f5db3d7, v11
	ds_write2_b64 v17, v[0:1], v[2:3] offset1:10
	v_sub_f32_e32 v1, v4, v8
	v_fmac_f32_e32 v14, 0xbf5db3d7, v5
	v_mul_f32_e32 v4, -0.5, v121
	v_mul_f32_e32 v5, -0.5, v129
	v_fmac_f32_e32 v49, 0x3f5db3d7, v7
	v_fmac_f32_e32 v4, 0x3f5db3d7, v129
	;; [unrolled: 1-line block ×3, first 2 shown]
	v_sub_f32_e32 v0, v6, v10
	v_add_f32_e32 v2, v14, v4
	v_add_f32_e32 v3, v49, v5
	ds_write2_b64 v17, v[2:3], v[0:1] offset0:20 offset1:30
	v_sub_f32_e32 v1, v49, v5
	v_sub_f32_e32 v0, v14, v4
	v_sub_f32_e32 v2, v15, v12
	v_sub_f32_e32 v3, v16, v13
	ds_write2_b64 v17, v[2:3], v[0:1] offset0:40 offset1:50
	v_add_f32_e32 v3, v122, v124
	v_add_f32_e32 v2, v113, v122
	v_fmac_f32_e32 v113, -0.5, v3
	v_add_f32_e32 v3, v115, v123
	v_add_f32_e32 v8, v3, v126
	;; [unrolled: 1-line block ×5, first 2 shown]
	v_sub_f32_e32 v9, v123, v126
	v_fmac_f32_e32 v115, -0.5, v3
	v_sub_f32_e32 v11, v122, v124
	v_add_f32_e32 v4, v0, v138
	v_add_f32_e32 v0, v135, v138
	;; [unrolled: 1-line block ×5, first 2 shown]
	v_fmamk_f32 v2, v9, 0x3f5db3d7, v113
	v_fmamk_f32 v3, v11, 0xbf5db3d7, v115
	v_sub_f32_e32 v5, v135, v138
	v_sub_f32_e32 v7, v131, v137
	v_mul_f32_e32 v12, 0x3f5db3d7, v3
	v_mul_f32_e32 v13, 0xbf5db3d7, v2
	v_fma_f32 v15, -0.5, v1, v44
	v_fma_f32 v16, -0.5, v0, v45
	v_accvgpr_write_b32 a72, v17
	v_fmac_f32_e32 v12, 0.5, v2
	v_fmac_f32_e32 v13, 0.5, v3
	v_mad_legacy_u16 v14, v56, 60, v57
	v_fmamk_f32 v17, v5, 0x3f5db3d7, v15
	v_fmamk_f32 v18, v7, 0xbf5db3d7, v16
	v_add_f32_e32 v0, v6, v10
	v_add_f32_e32 v1, v4, v8
	;; [unrolled: 1-line block ×4, first 2 shown]
	v_lshlrev_b32_e32 v14, 3, v14
	v_fmac_f32_e32 v113, 0xbf5db3d7, v9
	v_fmac_f32_e32 v115, 0x3f5db3d7, v11
	ds_write2_b64 v14, v[0:1], v[2:3] offset1:10
	v_sub_f32_e32 v1, v4, v8
	v_fmac_f32_e32 v15, 0xbf5db3d7, v5
	v_mul_f32_e32 v4, -0.5, v113
	v_mul_f32_e32 v5, -0.5, v115
	v_fmac_f32_e32 v16, 0x3f5db3d7, v7
	v_fmac_f32_e32 v4, 0x3f5db3d7, v115
	;; [unrolled: 1-line block ×3, first 2 shown]
	v_sub_f32_e32 v0, v6, v10
	v_add_f32_e32 v2, v15, v4
	v_add_f32_e32 v3, v16, v5
	ds_write2_b64 v14, v[2:3], v[0:1] offset0:20 offset1:30
	v_sub_f32_e32 v0, v17, v12
	v_sub_f32_e32 v1, v18, v13
	;; [unrolled: 1-line block ×4, first 2 shown]
	ds_write2_b64 v14, v[0:1], v[2:3] offset0:40 offset1:50
	v_add_f32_e32 v2, v119, v143
	v_add_f32_e32 v0, v47, v116
	;; [unrolled: 1-line block ×3, first 2 shown]
	v_fmac_f32_e32 v111, -0.5, v2
	v_add_f32_e32 v2, v112, v120
	v_add_f32_e32 v4, v0, v118
	;; [unrolled: 1-line block ×5, first 2 shown]
	v_fmac_f32_e32 v47, -0.5, v0
	v_add_f32_e32 v0, v46, v114
	v_sub_f32_e32 v9, v120, v144
	v_fmac_f32_e32 v112, -0.5, v2
	v_sub_f32_e32 v11, v119, v143
	v_add_f32_e32 v6, v0, v117
	v_add_f32_e32 v0, v114, v117
	;; [unrolled: 1-line block ×3, first 2 shown]
	v_fmamk_f32 v1, v9, 0x3f5db3d7, v111
	v_fmamk_f32 v2, v11, 0xbf5db3d7, v112
	v_sub_f32_e32 v5, v116, v118
	v_sub_f32_e32 v7, v114, v117
	v_mul_f32_e32 v12, 0x3f5db3d7, v2
	v_mul_f32_e32 v13, 0xbf5db3d7, v1
	v_fma_f32 v15, -0.5, v0, v46
	v_accvgpr_write_b32 a73, v14
	v_fmac_f32_e32 v12, 0.5, v1
	v_fmac_f32_e32 v13, 0.5, v2
	v_mad_legacy_u16 v14, v62, 60, v63
	v_fmamk_f32 v16, v5, 0x3f5db3d7, v15
	v_fmamk_f32 v17, v7, 0xbf5db3d7, v47
	v_add_f32_e32 v0, v6, v10
	v_add_f32_e32 v1, v4, v8
	;; [unrolled: 1-line block ×4, first 2 shown]
	v_lshlrev_b32_e32 v14, 3, v14
	v_fmac_f32_e32 v111, 0xbf5db3d7, v9
	v_fmac_f32_e32 v112, 0x3f5db3d7, v11
	ds_write2_b64 v14, v[0:1], v[2:3] offset1:10
	v_sub_f32_e32 v1, v4, v8
	v_fmac_f32_e32 v15, 0xbf5db3d7, v5
	v_mul_f32_e32 v4, -0.5, v111
	v_mul_f32_e32 v5, -0.5, v112
	v_fmac_f32_e32 v47, 0x3f5db3d7, v7
	v_fmac_f32_e32 v4, 0x3f5db3d7, v112
	;; [unrolled: 1-line block ×3, first 2 shown]
	v_sub_f32_e32 v0, v6, v10
	v_add_f32_e32 v2, v15, v4
	v_add_f32_e32 v3, v47, v5
	ds_write2_b64 v14, v[2:3], v[0:1] offset0:20 offset1:30
	v_sub_f32_e32 v1, v47, v5
	v_sub_f32_e32 v0, v15, v4
	;; [unrolled: 1-line block ×4, first 2 shown]
	v_mul_f32_e32 v134, v146, v31
	ds_write2_b64 v14, v[2:3], v[0:1] offset0:40 offset1:50
	v_add_f32_e32 v2, v107, v132
	v_fmac_f32_e32 v134, v147, v30
	v_add_f32_e32 v0, v43, v110
	v_add_f32_e32 v1, v105, v107
	v_fmac_f32_e32 v105, -0.5, v2
	v_add_f32_e32 v2, v106, v109
	v_add_f32_e32 v4, v0, v128
	;; [unrolled: 1-line block ×5, first 2 shown]
	v_fmac_f32_e32 v43, -0.5, v0
	v_add_f32_e32 v0, v42, v108
	v_sub_f32_e32 v9, v109, v134
	v_fmac_f32_e32 v106, -0.5, v2
	v_sub_f32_e32 v11, v107, v132
	v_add_f32_e32 v6, v0, v125
	v_add_f32_e32 v0, v108, v125
	;; [unrolled: 1-line block ×3, first 2 shown]
	v_fmamk_f32 v1, v9, 0x3f5db3d7, v105
	v_fmamk_f32 v2, v11, 0xbf5db3d7, v106
	v_sub_f32_e32 v5, v110, v128
	v_sub_f32_e32 v7, v108, v125
	v_mul_f32_e32 v12, 0x3f5db3d7, v2
	v_mul_f32_e32 v13, 0xbf5db3d7, v1
	v_fma_f32 v15, -0.5, v0, v42
	v_accvgpr_write_b32 a74, v14
	v_fmac_f32_e32 v12, 0.5, v1
	v_fmac_f32_e32 v13, 0.5, v2
	v_mad_legacy_u16 v14, v64, 60, v65
	v_fmamk_f32 v16, v5, 0x3f5db3d7, v15
	v_fmamk_f32 v17, v7, 0xbf5db3d7, v43
	v_add_f32_e32 v0, v6, v10
	v_add_f32_e32 v1, v4, v8
	;; [unrolled: 1-line block ×4, first 2 shown]
	v_lshlrev_b32_e32 v14, 3, v14
	v_fmac_f32_e32 v105, 0xbf5db3d7, v9
	v_fmac_f32_e32 v106, 0x3f5db3d7, v11
	ds_write2_b64 v14, v[0:1], v[2:3] offset1:10
	v_sub_f32_e32 v1, v4, v8
	v_fmac_f32_e32 v15, 0xbf5db3d7, v5
	v_mul_f32_e32 v4, -0.5, v105
	v_mul_f32_e32 v5, -0.5, v106
	v_fmac_f32_e32 v43, 0x3f5db3d7, v7
	v_fmac_f32_e32 v4, 0x3f5db3d7, v106
	;; [unrolled: 1-line block ×3, first 2 shown]
	v_sub_f32_e32 v0, v6, v10
	v_add_f32_e32 v2, v15, v4
	v_add_f32_e32 v3, v43, v5
	v_mul_lo_u16_e32 v116, 0x89, v54
	ds_write2_b64 v14, v[2:3], v[0:1] offset0:20 offset1:30
	v_sub_f32_e32 v1, v43, v5
	v_sub_f32_e32 v0, v15, v4
	;; [unrolled: 1-line block ×4, first 2 shown]
	v_lshrrev_b16_e32 v22, 13, v116
	ds_write2_b64 v14, v[2:3], v[0:1] offset0:40 offset1:50
	v_mul_lo_u16_e32 v0, 60, v22
	v_sub_u16_e32 v0, v54, v0
	v_and_b32_e32 v23, 0xff, v0
	v_mul_u32_u24_e32 v0, 0x445, v104
	v_lshrrev_b32_e32 v24, 16, v0
	v_mul_lo_u16_e32 v0, 60, v24
	v_sub_u16_e32 v25, v104, v0
	v_mul_u32_u24_e32 v0, 0x445, v52
	v_lshrrev_b32_e32 v117, 16, v0
	v_mul_lo_u16_e32 v0, 60, v117
	v_sub_u16_e32 v168, v52, v0
	v_lshlrev_b32_e32 v0, 3, v23
	s_waitcnt lgkmcnt(0)
	s_barrier
	v_lshlrev_b32_e32 v1, 3, v25
	v_lshlrev_b32_e32 v2, 3, v168
	global_load_dwordx2 v[4:5], v0, s[10:11] offset:400
	global_load_dwordx2 v[6:7], v1, s[10:11] offset:400
	;; [unrolled: 1-line block ×3, first 2 shown]
	v_mul_lo_u16_e32 v0, 0x89, v230
	v_lshrrev_b16_e32 v120, 13, v0
	v_mul_lo_u16_e32 v0, 60, v120
	v_sub_u16_e32 v0, v230, v0
	v_and_b32_e32 v121, 0xff, v0
	v_mul_u32_u24_e32 v108, 0x889, v95
	v_lshlrev_b32_e32 v0, 3, v121
	v_lshrrev_b32_e32 v169, 17, v108
	v_mul_u32_u24_e32 v109, 0x889, v102
	global_load_dwordx2 v[8:9], v0, s[10:11] offset:400
	v_mul_lo_u16_e32 v0, 60, v169
	v_lshrrev_b32_e32 v171, 17, v109
	v_sub_u16_e32 v170, v95, v0
	v_mul_lo_u16_e32 v0, 60, v171
	v_sub_u16_e32 v172, v102, v0
	v_mul_u32_u24_e32 v110, 0x889, v53
	v_lshlrev_b32_e32 v0, 3, v172
	v_lshlrev_b32_e32 v1, 3, v170
	v_mul_u32_u24_e32 v105, 0x889, v94
	v_lshrrev_b32_e32 v178, 17, v110
	v_accvgpr_write_b32 a75, v14
	v_lshrrev_b32_e32 v173, 17, v105
	global_load_dwordx2 v[14:15], v0, s[10:11] offset:400
	global_load_dwordx2 v[12:13], v1, s[10:11] offset:400
	v_mul_lo_u16_e32 v0, 60, v178
	v_mul_lo_u16_e32 v2, 60, v173
	v_sub_u16_e32 v179, v53, v0
	v_lshlrev_b32_e32 v0, 3, v179
	v_sub_u16_e32 v180, v94, v2
	global_load_dwordx2 v[10:11], v0, s[10:11] offset:400
	v_lshlrev_b32_e32 v0, 3, v180
	global_load_dwordx2 v[16:17], v0, s[10:11] offset:400
	v_mul_u32_u24_e32 v106, 0x889, v92
	v_lshrrev_b32_e32 v181, 17, v106
	v_mul_lo_u16_e32 v0, 60, v181
	v_sub_u16_e32 v182, v92, v0
	v_lshlrev_b32_e32 v0, 3, v182
	global_load_dwordx2 v[18:19], v0, s[10:11] offset:400
	ds_read2st64_b64 v[44:47], v96 offset0:32 offset1:34
	ds_read2st64_b64 v[56:59], v96 offset0:56 offset1:58
	;; [unrolled: 1-line block ×3, first 2 shown]
	v_mul_u32_u24_e32 v107, 0x889, v51
	v_accvgpr_write_b32 a63, v20
	v_mul_u32_u24_e32 v112, 0x889, v93
	v_mul_u32_u24_e32 v111, 0x445, v50
	;; [unrolled: 1-line block ×3, first 2 shown]
	s_waitcnt vmcnt(8) lgkmcnt(2)
	v_mul_f32_e32 v0, v45, v5
	v_mul_f32_e32 v3, v44, v5
	v_fma_f32 v2, v44, v4, -v0
	v_fmac_f32_e32 v3, v45, v4
	ds_read2st64_b64 v[42:45], v96 offset0:28 offset1:30
	s_waitcnt vmcnt(7)
	v_mul_f32_e32 v0, v47, v7
	v_mul_f32_e32 v184, v46, v7
	v_fma_f32 v183, v46, v6, -v0
	v_fmac_f32_e32 v184, v47, v6
	ds_read2st64_b64 v[46:49], v96 offset1:2
	v_accvgpr_write_b32 a77, v5
	v_accvgpr_write_b32 a76, v4
	s_waitcnt vmcnt(5) lgkmcnt(1)
	v_mul_f32_e32 v0, v45, v9
	v_mul_f32_e32 v1, v44, v9
	v_fma_f32 v0, v44, v8, -v0
	v_fmac_f32_e32 v1, v45, v8
	v_accvgpr_write_b32 a79, v9
	v_accvgpr_write_b32 a78, v8
	s_waitcnt lgkmcnt(0)
	v_sub_f32_e32 v0, v46, v0
	v_sub_f32_e32 v1, v47, v1
	v_accvgpr_write_b32 a81, v7
	v_sub_f32_e32 v2, v48, v2
	v_sub_f32_e32 v3, v49, v3
	v_fma_f32 v4, v46, 2.0, -v0
	v_fma_f32 v5, v47, 2.0, -v1
	s_waitcnt vmcnt(4)
	v_pk_mul_f32 v[8:9], v[58:59], v[14:15] op_sel:[0,1]
	v_accvgpr_write_b32 a80, v6
	v_pk_fma_f32 v[44:45], v[58:59], v[14:15], v[8:9] op_sel:[0,0,1] op_sel_hi:[1,1,0] neg_lo:[0,0,1] neg_hi:[0,0,1]
	v_pk_fma_f32 v[46:47], v[58:59], v[14:15], v[8:9] op_sel:[0,0,1] op_sel_hi:[1,0,0]
	s_waitcnt vmcnt(3)
	v_pk_mul_f32 v[8:9], v[56:57], v[12:13] op_sel:[0,1]
	v_fma_f32 v6, v48, 2.0, -v2
	v_fma_f32 v7, v49, 2.0, -v3
	v_pk_fma_f32 v[48:49], v[56:57], v[12:13], v[8:9] op_sel:[0,0,1] op_sel_hi:[1,1,0] neg_lo:[0,0,1] neg_hi:[0,0,1]
	v_pk_fma_f32 v[56:57], v[56:57], v[12:13], v[8:9] op_sel:[0,0,1] op_sel_hi:[1,0,0]
	s_waitcnt vmcnt(2)
	v_pk_mul_f32 v[8:9], v[64:65], v[10:11] op_sel:[0,1]
	v_accvgpr_write_b32 a85, v11
	v_pk_fma_f32 v[58:59], v[64:65], v[10:11], v[8:9] op_sel:[0,0,1] op_sel_hi:[1,1,0] neg_lo:[0,0,1] neg_hi:[0,0,1]
	v_pk_fma_f32 v[60:61], v[64:65], v[10:11], v[8:9] op_sel:[0,0,1] op_sel_hi:[1,0,0]
	s_waitcnt vmcnt(1)
	v_pk_mul_f32 v[8:9], v[62:63], v[16:17] op_sel:[0,1]
	v_accvgpr_write_b32 a84, v10
	v_pk_fma_f32 v[10:11], v[62:63], v[16:17], v[8:9] op_sel:[0,0,1] op_sel_hi:[1,1,0] neg_lo:[0,0,1] neg_hi:[0,0,1]
	v_pk_fma_f32 v[8:9], v[62:63], v[16:17], v[8:9] op_sel:[0,0,1] op_sel_hi:[1,0,0]
	ds_read2st64_b64 v[62:65], v96 offset0:48 offset1:50
	v_lshrrev_b32_e32 v8, 17, v107
	v_mul_lo_u16_e32 v11, 60, v8
	v_accvgpr_write_b32 a87, v13
	v_sub_u16_e32 v11, v51, v11
	v_accvgpr_write_b32 a86, v12
	v_lshlrev_b32_e32 v12, 3, v11
	v_accvgpr_write_b32 a89, v15
	global_load_dwordx2 v[20:21], v12, s[10:11] offset:400
	s_waitcnt vmcnt(1) lgkmcnt(0)
	v_pk_mul_f32 v[12:13], v[64:65], v[18:19] op_sel:[0,1]
	v_accvgpr_write_b32 a88, v14
	v_pk_fma_f32 v[14:15], v[64:65], v[18:19], v[12:13] op_sel:[0,0,1] op_sel_hi:[1,1,0] neg_lo:[0,0,1] neg_hi:[0,0,1]
	v_pk_fma_f32 v[12:13], v[64:65], v[18:19], v[12:13] op_sel:[0,0,1] op_sel_hi:[1,0,0]
	v_accvgpr_write_b32 a83, v17
	v_lshrrev_b32_e32 v12, 17, v112
	v_mul_lo_u16_e32 v15, 60, v12
	v_sub_u16_e32 v15, v93, v15
	v_accvgpr_write_b32 a82, v16
	v_lshlrev_b32_e32 v16, 3, v15
	global_load_dwordx2 v[114:115], v16, s[10:11] offset:400
	v_accvgpr_write_b32 a91, v19
	v_accvgpr_write_b32 a90, v18
	;; [unrolled: 1-line block ×4, first 2 shown]
	s_waitcnt vmcnt(1)
	v_pk_mul_f32 v[16:17], v[62:63], v[20:21] op_sel:[0,1]
	s_nop 0
	v_pk_fma_f32 v[18:19], v[62:63], v[20:21], v[16:17] op_sel:[0,0,1] op_sel_hi:[1,1,0] neg_lo:[0,0,1] neg_hi:[0,0,1]
	v_pk_fma_f32 v[16:17], v[62:63], v[20:21], v[16:17] op_sel:[0,0,1] op_sel_hi:[1,0,0]
	ds_read2st64_b64 v[62:65], v96 offset0:44 offset1:46
	v_lshrrev_b32_e32 v16, 16, v111
	v_mul_lo_u16_e32 v19, 60, v16
	v_accvgpr_write_b32 a93, v21
	v_sub_u16_e32 v19, v50, v19
	v_accvgpr_write_b32 a92, v20
	v_lshlrev_b32_e32 v46, 3, v19
	global_load_dwordx2 v[124:125], v46, s[10:11] offset:400
	s_waitcnt vmcnt(1) lgkmcnt(0)
	v_pk_mul_f32 v[20:21], v[64:65], v[114:115] op_sel:[0,1]
	v_accvgpr_write_b32 a94, v114
	v_pk_fma_f32 v[138:139], v[64:65], v[114:115], v[20:21] op_sel:[0,0,1] op_sel_hi:[1,1,0] neg_lo:[0,0,1] neg_hi:[0,0,1]
	v_pk_fma_f32 v[20:21], v[64:65], v[114:115], v[20:21] op_sel:[0,0,1] op_sel_hi:[1,0,0]
	v_accvgpr_write_b32 a95, v115
	v_mul_u32_u24_e32 v114, 0x445, v55
	v_lshrrev_b32_e32 v20, 16, v114
	v_mul_lo_u16_e32 v45, 60, v20
	v_sub_u16_e32 v45, v55, v45
	v_lshlrev_b32_e32 v46, 3, v45
	global_load_dwordx2 v[118:119], v46, s[10:11] offset:400
	v_lshrrev_b32_e32 v46, 16, v113
	v_mul_lo_u16_e32 v49, 60, v46
	v_sub_u16_e32 v49, v103, v49
	v_lshlrev_b32_e32 v56, 3, v49
	global_load_dwordx2 v[126:127], v56, s[10:11] offset:400
	v_mul_u32_u24_e32 v115, 0x445, v97
	v_lshrrev_b32_e32 v56, 16, v115
	v_mul_lo_u16_e32 v59, 60, v56
	v_sub_u16_e32 v59, v97, v59
	v_lshlrev_b32_e32 v60, 3, v59
	v_mov_b32_e32 v139, v21
	v_lshrrev_b32_e32 v21, 18, v109
	s_waitcnt vmcnt(2)
	v_pk_mul_f32 v[64:65], v[62:63], v[124:125] op_sel:[0,1]
	s_nop 0
	v_pk_fma_f32 v[140:141], v[62:63], v[124:125], v[64:65] op_sel:[0,0,1] op_sel_hi:[1,1,0] neg_lo:[0,0,1] neg_hi:[0,0,1]
	v_pk_fma_f32 v[142:143], v[62:63], v[124:125], v[64:65] op_sel:[0,0,1] op_sel_hi:[1,0,0]
	ds_read2st64_b64 v[62:65], v96 offset0:40 offset1:42
	v_accvgpr_write_b32 a96, v124
	v_accvgpr_write_b32 a97, v125
	v_mov_b32_e32 v141, v143
	s_waitcnt vmcnt(1)
	v_mov_b64_e32 v[124:125], v[118:119]
	s_waitcnt lgkmcnt(0)
	v_pk_mul_f32 v[118:119], v[64:65], v[124:125] op_sel:[0,1]
	v_accvgpr_write_b32 a100, v124
	v_pk_fma_f32 v[144:145], v[64:65], v[124:125], v[118:119] op_sel:[0,0,1] op_sel_hi:[1,1,0] neg_lo:[0,0,1] neg_hi:[0,0,1]
	v_pk_fma_f32 v[146:147], v[64:65], v[124:125], v[118:119] op_sel:[0,0,1] op_sel_hi:[1,0,0]
	v_accvgpr_write_b32 a101, v125
	global_load_dwordx2 v[124:125], v60, s[10:11] offset:400
	s_waitcnt vmcnt(1)
	v_pk_mul_f32 v[64:65], v[62:63], v[126:127] op_sel:[0,1]
	v_mul_u32_u24_e32 v60, 0x78, v120
	v_pk_fma_f32 v[156:157], v[62:63], v[126:127], v[64:65] op_sel:[0,0,1] op_sel_hi:[1,1,0] neg_lo:[0,0,1] neg_hi:[0,0,1]
	v_pk_fma_f32 v[158:159], v[62:63], v[126:127], v[64:65] op_sel:[0,0,1] op_sel_hi:[1,0,0]
	ds_read2st64_b64 v[62:65], v96 offset0:36 offset1:38
	v_accvgpr_write_b32 a106, v126
	v_add_lshl_u32 v60, v60, v121, 3
	v_accvgpr_write_b32 a107, v127
	v_mov_b32_e32 v157, v159
	v_mov_b32_e32 v145, v147
	v_accvgpr_write_b32 a98, v60
	s_waitcnt vmcnt(0) lgkmcnt(0)
	v_pk_mul_f32 v[118:119], v[64:65], v[124:125] op_sel:[0,1]
	s_nop 0
	v_pk_fma_f32 v[160:161], v[64:65], v[124:125], v[118:119] op_sel:[0,0,1] op_sel_hi:[1,1,0] neg_lo:[0,0,1] neg_hi:[0,0,1]
	v_pk_fma_f32 v[162:163], v[64:65], v[124:125], v[118:119] op_sel:[0,0,1] op_sel_hi:[1,0,0]
	v_accvgpr_write_b32 a108, v124
	v_pk_mul_f32 v[64:65], v[62:63], v[122:123] op_sel:[0,1]
	v_accvgpr_write_b32 a109, v125
	v_pk_fma_f32 v[164:165], v[62:63], v[122:123], v[64:65] op_sel:[0,0,1] op_sel_hi:[1,1,0] neg_lo:[0,0,1] neg_hi:[0,0,1]
	v_pk_fma_f32 v[166:167], v[62:63], v[122:123], v[64:65] op_sel:[0,0,1] op_sel_hi:[1,0,0]
	ds_read2st64_b64 v[62:65], v96 offset0:4 offset1:6
	ds_read2st64_b64 v[118:121], v96 offset0:24 offset1:26
	;; [unrolled: 1-line block ×6, first 2 shown]
	s_waitcnt lgkmcnt(0)
	s_barrier
	ds_write2_b64 v60, v[4:5], v[0:1] offset1:60
	v_mul_u32_u24_e32 v0, 0x78, v22
	v_add_lshl_u32 v0, v0, v23, 3
	ds_write2_b64 v0, v[6:7], v[2:3] offset1:60
	v_accvgpr_write_b32 a99, v0
	v_sub_f32_e32 v0, v62, v183
	v_sub_f32_e32 v1, v63, v184
	v_mad_legacy_u16 v4, v24, s8, v25
	v_fma_f32 v2, v62, 2.0, -v0
	v_fma_f32 v3, v63, 2.0, -v1
	v_lshlrev_b32_e32 v4, 3, v4
	v_mov_b32_e32 v165, v167
	ds_write2_b64 v4, v[2:3], v[0:1] offset1:60
	v_accvgpr_write_b32 a102, v4
	v_pk_add_f32 v[0:1], v[64:65], v[164:165] neg_lo:[0,1] neg_hi:[0,1]
	v_mad_legacy_u16 v4, v117, s8, v168
	v_pk_fma_f32 v[2:3], v[64:65], 2.0, v[0:1] op_sel_hi:[1,0,1] neg_lo:[0,0,1] neg_hi:[0,0,1]
	v_lshlrev_b32_e32 v4, 3, v4
	ds_write2_b64 v4, v[2:3], v[0:1] offset1:60
	v_mov_b32_e32 v161, v163
	v_mad_legacy_u16 v0, v56, s8, v59
	v_accvgpr_write_b32 a103, v4
	v_lshlrev_b32_e32 v4, 3, v0
	v_pk_add_f32 v[0:1], v[134:135], v[160:161] neg_lo:[0,1] neg_hi:[0,1]
	v_accvgpr_write_b32 a104, v4
	v_pk_fma_f32 v[2:3], v[134:135], 2.0, v[0:1] op_sel_hi:[1,0,1] neg_lo:[0,0,1] neg_hi:[0,0,1]
	ds_write2_b64 v4, v[2:3], v[0:1] offset1:60
	v_pk_add_f32 v[0:1], v[136:137], v[156:157] neg_lo:[0,1] neg_hi:[0,1]
	v_mad_legacy_u16 v4, v46, s8, v49
	v_pk_fma_f32 v[2:3], v[136:137], 2.0, v[0:1] op_sel_hi:[1,0,1] neg_lo:[0,0,1] neg_hi:[0,0,1]
	v_lshlrev_b32_e32 v4, 3, v4
	ds_write2_b64 v4, v[2:3], v[0:1] offset1:60
	v_mad_legacy_u16 v0, v20, s8, v45
	v_accvgpr_write_b32 a105, v4
	v_lshlrev_b32_e32 v4, 3, v0
	v_pk_add_f32 v[0:1], v[130:131], v[144:145] neg_lo:[0,1] neg_hi:[0,1]
	v_accvgpr_write_b32 a112, v4
	v_pk_fma_f32 v[2:3], v[130:131], 2.0, v[0:1] op_sel_hi:[1,0,1] neg_lo:[0,0,1] neg_hi:[0,0,1]
	ds_write2_b64 v4, v[2:3], v[0:1] offset1:60
	v_pk_add_f32 v[0:1], v[132:133], v[140:141] neg_lo:[0,1] neg_hi:[0,1]
	v_mad_legacy_u16 v4, v16, s8, v19
	v_pk_fma_f32 v[2:3], v[132:133], 2.0, v[0:1] op_sel_hi:[1,0,1] neg_lo:[0,0,1] neg_hi:[0,0,1]
	v_lshlrev_b32_e32 v4, 3, v4
	ds_write2_b64 v4, v[2:3], v[0:1] offset1:60
	v_mad_legacy_u16 v0, v12, s8, v15
	v_accvgpr_write_b32 a113, v4
	v_lshlrev_b32_e32 v4, 3, v0
	v_pk_add_f32 v[0:1], v[126:127], v[138:139] neg_lo:[0,1] neg_hi:[0,1]
	v_mov_b32_e32 v19, v17
	v_pk_fma_f32 v[2:3], v[126:127], 2.0, v[0:1] op_sel_hi:[1,0,1] neg_lo:[0,0,1] neg_hi:[0,0,1]
	ds_write2_b64 v4, v[2:3], v[0:1] offset1:60
	v_accvgpr_write_b32 a114, v4
	v_pk_add_f32 v[0:1], v[128:129], v[18:19] neg_lo:[0,1] neg_hi:[0,1]
	v_mad_legacy_u16 v4, v8, s8, v11
	v_pk_fma_f32 v[2:3], v[128:129], 2.0, v[0:1] op_sel_hi:[1,0,1] neg_lo:[0,0,1] neg_hi:[0,0,1]
	v_lshlrev_b32_e32 v4, 3, v4
	ds_write2_b64 v4, v[2:3], v[0:1] offset1:60
	v_mov_b32_e32 v15, v13
	v_mad_legacy_u16 v0, v181, s8, v182
	v_accvgpr_write_b32 a115, v4
	v_lshlrev_b32_e32 v4, 3, v0
	v_pk_add_f32 v[0:1], v[122:123], v[14:15] neg_lo:[0,1] neg_hi:[0,1]
	v_mov_b32_e32 v11, v9
	v_pk_fma_f32 v[2:3], v[122:123], 2.0, v[0:1] op_sel_hi:[1,0,1] neg_lo:[0,0,1] neg_hi:[0,0,1]
	ds_write2_b64 v4, v[2:3], v[0:1] offset1:60
	v_accvgpr_write_b32 a116, v4
	v_pk_add_f32 v[0:1], v[124:125], v[10:11] neg_lo:[0,1] neg_hi:[0,1]
	v_mad_legacy_u16 v4, v173, s8, v180
	v_pk_fma_f32 v[2:3], v[124:125], 2.0, v[0:1] op_sel_hi:[1,0,1] neg_lo:[0,0,1] neg_hi:[0,0,1]
	v_lshlrev_b32_e32 v4, 3, v4
	ds_write2_b64 v4, v[2:3], v[0:1] offset1:60
	v_mov_b32_e32 v59, v61
	v_mad_legacy_u16 v0, v178, s8, v179
	v_accvgpr_write_b32 a117, v4
	v_lshlrev_b32_e32 v4, 3, v0
	v_pk_add_f32 v[0:1], v[118:119], v[58:59] neg_lo:[0,1] neg_hi:[0,1]
	v_mov_b32_e32 v49, v57
	v_pk_fma_f32 v[2:3], v[118:119], 2.0, v[0:1] op_sel_hi:[1,0,1] neg_lo:[0,0,1] neg_hi:[0,0,1]
	ds_write2_b64 v4, v[2:3], v[0:1] offset1:60
	v_accvgpr_write_b32 a118, v4
	v_pk_add_f32 v[0:1], v[120:121], v[48:49] neg_lo:[0,1] neg_hi:[0,1]
	v_mad_legacy_u16 v4, v169, s8, v170
	v_pk_fma_f32 v[2:3], v[120:121], 2.0, v[0:1] op_sel_hi:[1,0,1] neg_lo:[0,0,1] neg_hi:[0,0,1]
	v_lshlrev_b32_e32 v4, 3, v4
	v_mov_b32_e32 v45, v47
	ds_write2_b64 v4, v[2:3], v[0:1] offset1:60
	v_accvgpr_write_b32 a119, v4
	v_pk_add_f32 v[0:1], v[42:43], v[44:45] neg_lo:[0,1] neg_hi:[0,1]
	v_mad_legacy_u16 v4, v171, s8, v172
	v_pk_fma_f32 v[2:3], v[42:43], 2.0, v[0:1] op_sel_hi:[1,0,1] neg_lo:[0,0,1] neg_hi:[0,0,1]
	v_lshlrev_b32_e32 v4, 3, v4
	ds_write2_b64 v4, v[2:3], v[0:1] offset1:60
	v_lshrrev_b32_e32 v20, 18, v108
	v_mul_lo_u16_e32 v1, 0x78, v21
	v_mul_lo_u16_e32 v0, 0x78, v20
	v_sub_u16_e32 v22, v102, v1
	v_lshlrev_b32_e32 v1, 3, v22
	v_sub_u16_e32 v23, v95, v0
	s_waitcnt lgkmcnt(0)
	s_barrier
	global_load_dwordx2 v[2:3], v1, s[10:11] offset:880
	v_lshlrev_b32_e32 v0, 3, v23
	v_lshrrev_b32_e32 v24, 18, v110
	v_accvgpr_write_b32 a120, v4
	global_load_dwordx2 v[4:5], v0, s[10:11] offset:880
	v_mul_lo_u16_e32 v0, 0x78, v24
	v_sub_u16_e32 v25, v53, v0
	v_lshlrev_b32_e32 v0, 3, v25
	global_load_dwordx2 v[6:7], v0, s[10:11] offset:880
	ds_read2st64_b64 v[56:59], v96 offset0:56 offset1:58
	ds_read2st64_b64 v[62:65], v96 offset0:52 offset1:54
	;; [unrolled: 1-line block ×3, first 2 shown]
	s_movk_i32 s8, 0x77
	s_waitcnt vmcnt(2) lgkmcnt(2)
	v_pk_mul_f32 v[0:1], v[58:59], v[2:3] op_sel:[0,1]
	s_nop 0
	v_pk_fma_f32 v[42:43], v[58:59], v[2:3], v[0:1] op_sel:[0,0,1] op_sel_hi:[1,1,0] neg_lo:[0,0,1] neg_hi:[0,0,1]
	v_pk_fma_f32 v[44:45], v[58:59], v[2:3], v[0:1] op_sel:[0,0,1] op_sel_hi:[1,0,0]
	v_lshrrev_b32_e32 v43, 18, v105
	s_waitcnt vmcnt(1)
	v_pk_mul_f32 v[0:1], v[56:57], v[4:5] op_sel:[0,1]
	v_accvgpr_write_b32 a125, v5
	v_pk_fma_f32 v[46:47], v[56:57], v[4:5], v[0:1] op_sel:[0,0,1] op_sel_hi:[1,1,0] neg_lo:[0,0,1] neg_hi:[0,0,1]
	v_pk_fma_f32 v[48:49], v[56:57], v[4:5], v[0:1] op_sel:[0,0,1] op_sel_hi:[1,0,0]
	v_mul_lo_u16_e32 v0, 0x78, v43
	v_sub_u16_e32 v47, v94, v0
	s_waitcnt vmcnt(0) lgkmcnt(1)
	v_pk_mul_f32 v[0:1], v[64:65], v[6:7] op_sel:[0,1]
	v_lshrrev_b32_e32 v48, 18, v106
	v_pk_fma_f32 v[56:57], v[64:65], v[6:7], v[0:1] op_sel:[0,0,1] op_sel_hi:[1,1,0] neg_lo:[0,0,1] neg_hi:[0,0,1]
	v_pk_fma_f32 v[58:59], v[64:65], v[6:7], v[0:1] op_sel:[0,0,1] op_sel_hi:[1,0,0]
	v_mul_lo_u16_e32 v0, 0x78, v48
	v_sub_u16_e32 v57, v92, v0
	v_lshlrev_b32_e32 v0, 3, v47
	v_accvgpr_write_b32 a124, v4
	global_load_dwordx2 v[4:5], v0, s[10:11] offset:880
	v_accvgpr_write_b32 a123, v3
	v_lshlrev_b32_e32 v0, 3, v57
	v_accvgpr_write_b32 a122, v2
	global_load_dwordx2 v[2:3], v0, s[10:11] offset:880
	v_lshrrev_b32_e32 v58, 18, v107
	v_accvgpr_write_b32 a127, v7
	v_accvgpr_write_b32 a126, v6
	s_waitcnt vmcnt(1)
	v_pk_mul_f32 v[0:1], v[62:63], v[4:5] op_sel:[0,1]
	s_nop 0
	v_pk_fma_f32 v[60:61], v[62:63], v[4:5], v[0:1] op_sel:[0,0,1] op_sel_hi:[1,1,0] neg_lo:[0,0,1] neg_hi:[0,0,1]
	v_pk_fma_f32 v[62:63], v[62:63], v[4:5], v[0:1] op_sel:[0,0,1] op_sel_hi:[1,0,0]
	v_mul_lo_u16_e32 v0, 0x78, v58
	v_sub_u16_e32 v61, v51, v0
	v_lshlrev_b32_e32 v0, 3, v61
	global_load_dwordx2 v[6:7], v0, s[10:11] offset:880
	s_waitcnt vmcnt(1) lgkmcnt(0)
	v_pk_mul_f32 v[0:1], v[120:121], v[2:3] op_sel:[0,1]
	v_accvgpr_write_b32 a131, v3
	v_pk_fma_f32 v[64:65], v[120:121], v[2:3], v[0:1] op_sel:[0,0,1] op_sel_hi:[1,1,0] neg_lo:[0,0,1] neg_hi:[0,0,1]
	v_pk_fma_f32 v[0:1], v[120:121], v[2:3], v[0:1] op_sel:[0,0,1] op_sel_hi:[1,0,0]
	v_accvgpr_write_b32 a130, v2
	v_lshrrev_b32_e32 v0, 18, v112
	v_mul_lo_u16_e32 v2, 0x78, v0
	v_sub_u16_e32 v62, v93, v2
	v_lshlrev_b32_e32 v2, 3, v62
	global_load_dwordx2 v[10:11], v2, s[10:11] offset:880
	v_accvgpr_write_b32 a129, v5
	v_accvgpr_write_b32 a128, v4
	s_waitcnt vmcnt(1)
	v_pk_mul_f32 v[2:3], v[118:119], v[6:7] op_sel:[0,1]
	s_nop 0
	v_pk_fma_f32 v[4:5], v[118:119], v[6:7], v[2:3] op_sel:[0,0,1] op_sel_hi:[1,1,0] neg_lo:[0,0,1] neg_hi:[0,0,1]
	v_pk_fma_f32 v[2:3], v[118:119], v[6:7], v[2:3] op_sel:[0,0,1] op_sel_hi:[1,0,0]
	ds_read2st64_b64 v[118:121], v96 offset0:44 offset1:46
	v_lshrrev_b32_e32 v2, 17, v111
	v_accvgpr_write_b32 a133, v7
	v_mul_lo_u16_e32 v5, 0x78, v2
	v_accvgpr_write_b32 a132, v6
	v_sub_u16_e32 v5, v50, v5
	s_waitcnt vmcnt(0) lgkmcnt(0)
	v_pk_mul_f32 v[6:7], v[120:121], v[10:11] op_sel:[0,1]
	v_accvgpr_write_b32 a135, v11
	v_pk_fma_f32 v[8:9], v[120:121], v[10:11], v[6:7] op_sel:[0,0,1] op_sel_hi:[1,1,0] neg_lo:[0,0,1] neg_hi:[0,0,1]
	v_pk_fma_f32 v[6:7], v[120:121], v[10:11], v[6:7] op_sel:[0,0,1] op_sel_hi:[1,0,0]
	v_accvgpr_write_b32 a134, v10
	v_lshlrev_b32_e32 v10, 3, v5
	global_load_dwordx2 v[14:15], v10, s[10:11] offset:880
	v_lshrrev_b32_e32 v6, 17, v114
	v_mul_lo_u16_e32 v9, 0x78, v6
	v_sub_u16_e32 v9, v55, v9
	v_lshlrev_b32_e32 v10, 3, v9
	global_load_dwordx2 v[18:19], v10, s[10:11] offset:880
	s_waitcnt vmcnt(1)
	v_pk_mul_f32 v[10:11], v[118:119], v[14:15] op_sel:[0,1]
	s_nop 0
	v_pk_fma_f32 v[12:13], v[118:119], v[14:15], v[10:11] op_sel:[0,0,1] op_sel_hi:[1,1,0] neg_lo:[0,0,1] neg_hi:[0,0,1]
	v_pk_fma_f32 v[10:11], v[118:119], v[14:15], v[10:11] op_sel:[0,0,1] op_sel_hi:[1,0,0]
	v_accvgpr_write_b32 a137, v15
	v_lshrrev_b32_e32 v10, 17, v113
	v_mul_lo_u16_e32 v13, 0x78, v10
	v_sub_u16_e32 v13, v103, v13
	ds_read2st64_b64 v[118:121], v96 offset0:40 offset1:42
	v_accvgpr_write_b32 a136, v14
	v_lshlrev_b32_e32 v14, 3, v13
	global_load_dwordx2 v[122:123], v14, s[10:11] offset:880
	s_waitcnt vmcnt(1)
	v_accvgpr_write_b32 a139, v19
	s_waitcnt lgkmcnt(0)
	v_pk_mul_f32 v[14:15], v[120:121], v[18:19] op_sel:[0,1]
	v_accvgpr_write_b32 a138, v18
	v_pk_fma_f32 v[16:17], v[120:121], v[18:19], v[14:15] op_sel:[0,0,1] op_sel_hi:[1,1,0] neg_lo:[0,0,1] neg_hi:[0,0,1]
	v_pk_fma_f32 v[14:15], v[120:121], v[18:19], v[14:15] op_sel:[0,0,1] op_sel_hi:[1,0,0]
	s_waitcnt vmcnt(0)
	v_accvgpr_write_b32 a141, v123
	v_lshrrev_b32_e32 v14, 17, v115
	v_mul_lo_u16_e32 v17, 0x78, v14
	v_sub_u16_e32 v17, v97, v17
	v_lshlrev_b32_e32 v18, 3, v17
	global_load_dwordx2 v[124:125], v18, s[10:11] offset:880
	v_pk_mul_f32 v[18:19], v[118:119], v[122:123] op_sel:[0,1]
	v_accvgpr_write_b32 a140, v122
	v_pk_fma_f32 v[146:147], v[118:119], v[122:123], v[18:19] op_sel:[0,0,1] op_sel_hi:[1,1,0] neg_lo:[0,0,1] neg_hi:[0,0,1]
	v_pk_fma_f32 v[18:19], v[118:119], v[122:123], v[18:19] op_sel:[0,0,1] op_sel_hi:[1,0,0]
	ds_read2st64_b64 v[118:121], v96 offset0:36 offset1:38
	v_mul_u32_u24_e32 v18, 0x223, v104
	v_lshrrev_b32_e32 v18, 16, v18
	v_mul_lo_u16_e32 v44, 0x78, v18
	v_sub_u16_e32 v65, v104, v44
	v_mul_u32_u24_e32 v44, 0x223, v52
	v_lshrrev_b32_e32 v104, 16, v44
	v_mul_lo_u16_e32 v117, 0x78, v104
	v_sub_u16_e32 v147, v52, v117
	v_lshlrev_b32_e32 v117, 3, v147
	s_waitcnt vmcnt(0) lgkmcnt(0)
	v_pk_mul_f32 v[122:123], v[120:121], v[124:125] op_sel:[0,1]
	s_nop 0
	v_pk_fma_f32 v[156:157], v[120:121], v[124:125], v[122:123] op_sel:[0,0,1] op_sel_hi:[1,1,0] neg_lo:[0,0,1] neg_hi:[0,0,1]
	v_pk_fma_f32 v[158:159], v[120:121], v[124:125], v[122:123] op_sel:[0,0,1] op_sel_hi:[1,0,0]
	global_load_dwordx2 v[122:123], v117, s[10:11] offset:880
	v_lshrrev_b16_e32 v157, 14, v116
	v_mul_lo_u16_e32 v116, 0x78, v157
	v_accvgpr_write_b32 a145, v125
	v_lshlrev_b32_e32 v117, 3, v65
	v_sub_u16_e32 v116, v54, v116
	v_accvgpr_write_b32 a144, v124
	global_load_dwordx2 v[124:125], v117, s[10:11] offset:880
	v_and_b32_e32 v158, 0xff, v116
	v_mul_u32_u24_e32 v157, 0xf0, v157
	v_add_lshl_u32 v157, v157, v158, 3
	v_accvgpr_write_b32 a152, v157
	s_waitcnt vmcnt(1)
	v_pk_mul_f32 v[120:121], v[118:119], v[122:123] op_sel:[0,1]
	s_nop 0
	v_pk_fma_f32 v[160:161], v[118:119], v[122:123], v[120:121] op_sel:[0,0,1] op_sel_hi:[1,1,0] neg_lo:[0,0,1] neg_hi:[0,0,1]
	v_pk_fma_f32 v[162:163], v[118:119], v[122:123], v[120:121] op_sel:[0,0,1] op_sel_hi:[1,0,0]
	v_lshl_add_u64 v[118:119], v[230:231], 0, s[12:13]
	v_cndmask_b32_e64 v121, v119, 0, vcc
	v_cndmask_b32_e32 v120, v118, v230, vcc
	v_lshl_add_u64 v[116:117], v[120:121], 3, s[10:11]
	global_load_dwordx2 v[126:127], v[116:117], off offset:880
	v_lshlrev_b32_e32 v116, 3, v158
	global_load_dwordx2 v[128:129], v116, s[10:11] offset:880
	ds_read2st64_b64 v[116:119], v96 offset0:32 offset1:34
	v_accvgpr_write_b32 a147, v123
	v_accvgpr_write_b32 a146, v122
	v_cmp_lt_u32_e32 vcc, s8, v230
	s_waitcnt vmcnt(2)
	v_accvgpr_write_b32 a143, v125
	s_waitcnt lgkmcnt(0)
	v_pk_mul_f32 v[122:123], v[118:119], v[124:125] op_sel:[0,1]
	v_accvgpr_write_b32 a142, v124
	v_pk_fma_f32 v[164:165], v[118:119], v[124:125], v[122:123] op_sel:[0,0,1] op_sel_hi:[1,1,0] neg_lo:[0,0,1] neg_hi:[0,0,1]
	v_pk_fma_f32 v[166:167], v[118:119], v[124:125], v[122:123] op_sel:[0,0,1] op_sel_hi:[1,0,0]
	s_movk_i32 s8, 0xf0
	v_mov_b32_e32 v165, v167
	v_mad_legacy_u16 v18, v18, s8, v65
	v_lshlrev_b32_e32 v18, 3, v18
	v_accvgpr_write_b32 a153, v18
	v_mad_legacy_u16 v14, v14, s8, v17
	v_lshlrev_b32_e32 v14, 3, v14
	v_mov_b32_e32 v17, v15
	v_accvgpr_write_b32 a155, v14
	v_mad_legacy_u16 v10, v10, s8, v13
	v_mad_legacy_u16 v6, v6, s8, v9
	v_lshlrev_b32_e32 v10, 3, v10
	v_lshlrev_b32_e32 v6, 3, v6
	v_mov_b32_e32 v13, v11
	v_mov_b32_e32 v9, v7
	v_accvgpr_write_b32 a156, v10
	v_accvgpr_write_b32 a157, v6
	v_mad_legacy_u16 v2, v2, s8, v5
	v_mad_legacy_u16 v0, v0, s8, v62
	v_lshlrev_b32_e32 v2, 3, v2
	v_lshlrev_b32_e32 v0, 3, v0
	v_mov_b32_e32 v5, v3
	v_accvgpr_write_b32 a158, v2
	v_accvgpr_write_b32 a159, v0
	v_mov_b32_e32 v65, v1
	s_mov_b64 s[12:13], 0xf0
	s_waitcnt vmcnt(1)
	v_accvgpr_write_b32 a151, v127
	v_accvgpr_write_b32 a150, v126
	s_waitcnt vmcnt(0)
	v_pk_mul_f32 v[118:119], v[116:117], v[128:129] op_sel:[0,1]
	v_accvgpr_write_b32 a149, v129
	v_pk_fma_f32 v[168:169], v[116:117], v[128:129], v[118:119] op_sel:[0,0,1] op_sel_hi:[1,1,0] neg_lo:[0,0,1] neg_hi:[0,0,1]
	v_pk_fma_f32 v[170:171], v[116:117], v[128:129], v[118:119] op_sel:[0,0,1] op_sel_hi:[1,0,0]
	v_mov_b32_e32 v116, 0xf0
	v_cndmask_b32_e32 v116, 0, v116, vcc
	v_add_lshl_u32 v161, v120, v116, 3
	ds_read2st64_b64 v[116:119], v96 offset0:28 offset1:30
	v_accvgpr_write_b32 a148, v128
	v_mov_b32_e32 v169, v171
	v_accvgpr_write_b32 a121, v161
	s_waitcnt lgkmcnt(0)
	v_pk_mul_f32 v[120:121], v[118:119], v[126:127] op_sel:[0,1]
	s_nop 0
	v_pk_fma_f32 v[122:123], v[118:119], v[126:127], v[120:121] op_sel:[0,0,1] op_sel_hi:[1,1,0] neg_lo:[0,0,1] neg_hi:[0,0,1]
	v_pk_fma_f32 v[118:119], v[118:119], v[126:127], v[120:121] op_sel:[0,0,1] op_sel_hi:[1,0,0]
	s_nop 0
	v_mov_b32_e32 v123, v119
	ds_read2st64_b64 v[118:121], v96 offset1:2
	s_waitcnt lgkmcnt(0)
	v_pk_add_f32 v[172:173], v[118:119], v[122:123] neg_lo:[0,1] neg_hi:[0,1]
	ds_read2st64_b64 v[122:125], v96 offset0:24 offset1:26
	ds_read2st64_b64 v[126:129], v96 offset0:20 offset1:22
	;; [unrolled: 1-line block ×6, first 2 shown]
	v_pk_fma_f32 v[118:119], v[118:119], 2.0, v[172:173] op_sel_hi:[1,0,1] neg_lo:[0,0,1] neg_hi:[0,0,1]
	s_waitcnt lgkmcnt(0)
	s_barrier
	ds_write2_b64 v161, v[118:119], v[172:173] offset1:120
	v_pk_add_f32 v[118:119], v[120:121], v[168:169] neg_lo:[0,1] neg_hi:[0,1]
	v_mov_b32_e32 v161, v163
	v_pk_fma_f32 v[120:121], v[120:121], 2.0, v[118:119] op_sel_hi:[1,0,1] neg_lo:[0,0,1] neg_hi:[0,0,1]
	ds_write2_b64 v157, v[120:121], v[118:119] offset1:120
	v_pk_add_f32 v[118:119], v[142:143], v[164:165] neg_lo:[0,1] neg_hi:[0,1]
	v_mov_b32_e32 v157, v159
	v_pk_fma_f32 v[120:121], v[142:143], 2.0, v[118:119] op_sel_hi:[1,0,1] neg_lo:[0,0,1] neg_hi:[0,0,1]
	ds_write2_b64 v18, v[120:121], v[118:119] offset1:120
	v_pk_add_f32 v[118:119], v[144:145], v[160:161] neg_lo:[0,1] neg_hi:[0,1]
	v_mad_legacy_u16 v18, v104, s8, v147
	v_pk_fma_f32 v[120:121], v[144:145], 2.0, v[118:119] op_sel_hi:[1,0,1] neg_lo:[0,0,1] neg_hi:[0,0,1]
	v_lshlrev_b32_e32 v18, 3, v18
	ds_write2_b64 v18, v[120:121], v[118:119] offset1:120
	v_pk_add_f32 v[118:119], v[138:139], v[156:157] neg_lo:[0,1] neg_hi:[0,1]
	v_mov_b32_e32 v147, v19
	v_pk_fma_f32 v[120:121], v[138:139], 2.0, v[118:119] op_sel_hi:[1,0,1] neg_lo:[0,0,1] neg_hi:[0,0,1]
	v_accvgpr_write_b32 a154, v18
	ds_write2_b64 v14, v[120:121], v[118:119] offset1:120
	v_pk_add_f32 v[18:19], v[140:141], v[146:147] neg_lo:[0,1] neg_hi:[0,1]
	v_pk_add_f32 v[14:15], v[134:135], v[16:17] neg_lo:[0,1] neg_hi:[0,1]
	v_pk_fma_f32 v[118:119], v[140:141], 2.0, v[18:19] op_sel_hi:[1,0,1] neg_lo:[0,0,1] neg_hi:[0,0,1]
	v_pk_fma_f32 v[16:17], v[134:135], 2.0, v[14:15] op_sel_hi:[1,0,1] neg_lo:[0,0,1] neg_hi:[0,0,1]
	ds_write2_b64 v10, v[118:119], v[18:19] offset1:120
	ds_write2_b64 v6, v[16:17], v[14:15] offset1:120
	v_pk_add_f32 v[10:11], v[136:137], v[12:13] neg_lo:[0,1] neg_hi:[0,1]
	v_pk_add_f32 v[6:7], v[130:131], v[8:9] neg_lo:[0,1] neg_hi:[0,1]
	v_pk_fma_f32 v[12:13], v[136:137], 2.0, v[10:11] op_sel_hi:[1,0,1] neg_lo:[0,0,1] neg_hi:[0,0,1]
	v_pk_fma_f32 v[8:9], v[130:131], 2.0, v[6:7] op_sel_hi:[1,0,1] neg_lo:[0,0,1] neg_hi:[0,0,1]
	ds_write2_b64 v2, v[12:13], v[10:11] offset1:120
	ds_write2_b64 v0, v[8:9], v[6:7] offset1:120
	v_pk_add_f32 v[2:3], v[132:133], v[4:5] neg_lo:[0,1] neg_hi:[0,1]
	v_mad_legacy_u16 v0, v58, s8, v61
	v_pk_fma_f32 v[4:5], v[132:133], 2.0, v[2:3] op_sel_hi:[1,0,1] neg_lo:[0,0,1] neg_hi:[0,0,1]
	v_lshlrev_b32_e32 v0, 3, v0
	ds_write2_b64 v0, v[4:5], v[2:3] offset1:120
	v_accvgpr_write_b32 a160, v0
	v_mad_legacy_u16 v0, v48, s8, v57
	v_lshlrev_b32_e32 v4, 3, v0
	v_pk_add_f32 v[0:1], v[126:127], v[64:65] neg_lo:[0,1] neg_hi:[0,1]
	v_mov_b32_e32 v61, v63
	v_pk_fma_f32 v[2:3], v[126:127], 2.0, v[0:1] op_sel_hi:[1,0,1] neg_lo:[0,0,1] neg_hi:[0,0,1]
	ds_write2_b64 v4, v[2:3], v[0:1] offset1:120
	v_accvgpr_write_b32 a161, v4
	v_pk_add_f32 v[0:1], v[128:129], v[60:61] neg_lo:[0,1] neg_hi:[0,1]
	v_mad_legacy_u16 v4, v43, s8, v47
	v_pk_fma_f32 v[2:3], v[128:129], 2.0, v[0:1] op_sel_hi:[1,0,1] neg_lo:[0,0,1] neg_hi:[0,0,1]
	v_lshlrev_b32_e32 v4, 3, v4
	ds_write2_b64 v4, v[2:3], v[0:1] offset1:120
	v_mov_b32_e32 v57, v59
	v_mad_legacy_u16 v0, v24, s8, v25
	v_accvgpr_write_b32 a162, v4
	v_lshlrev_b32_e32 v4, 3, v0
	v_pk_add_f32 v[0:1], v[122:123], v[56:57] neg_lo:[0,1] neg_hi:[0,1]
	v_mov_b32_e32 v47, v49
	v_pk_fma_f32 v[2:3], v[122:123], 2.0, v[0:1] op_sel_hi:[1,0,1] neg_lo:[0,0,1] neg_hi:[0,0,1]
	ds_write2_b64 v4, v[2:3], v[0:1] offset1:120
	v_accvgpr_write_b32 a163, v4
	v_pk_add_f32 v[0:1], v[124:125], v[46:47] neg_lo:[0,1] neg_hi:[0,1]
	v_mad_legacy_u16 v4, v20, s8, v23
	v_pk_fma_f32 v[2:3], v[124:125], 2.0, v[0:1] op_sel_hi:[1,0,1] neg_lo:[0,0,1] neg_hi:[0,0,1]
	v_lshlrev_b32_e32 v4, 3, v4
	v_mov_b32_e32 v43, v45
	ds_write2_b64 v4, v[2:3], v[0:1] offset1:120
	v_accvgpr_write_b32 a164, v4
	v_pk_add_f32 v[0:1], v[116:117], v[42:43] neg_lo:[0,1] neg_hi:[0,1]
	v_mad_legacy_u16 v4, v21, s8, v22
	v_pk_fma_f32 v[2:3], v[116:117], 2.0, v[0:1] op_sel_hi:[1,0,1] neg_lo:[0,0,1] neg_hi:[0,0,1]
	v_lshlrev_b32_e32 v4, 3, v4
	v_lshrrev_b32_e32 v20, 19, v108
	ds_write2_b64 v4, v[2:3], v[0:1] offset1:120
	v_mul_lo_u16_e32 v0, 0xf0, v20
	v_sub_u16_e32 v21, v95, v0
	v_lshrrev_b32_e32 v0, 19, v109
	v_mul_lo_u16_e32 v0, 0xf0, v0
	v_sub_u16_e32 v0, v102, v0
	v_lshlrev_b32_e32 v22, 3, v0
	v_accvgpr_write_b32 a165, v4
	s_waitcnt lgkmcnt(0)
	s_barrier
	global_load_dwordx2 v[4:5], v22, s[10:11] offset:1840
	global_load_dwordx2 v[232:233], v96, s[10:11] offset:1840
	ds_read2st64_b64 v[46:49], v96 offset0:56 offset1:58
	v_lshrrev_b32_e32 v25, 18, v115
	v_mul_lo_u16_e32 v25, 0xf0, v25
	v_sub_u16_e32 v25, v97, v25
	v_lshlrev_b32_e32 v25, 3, v25
	s_movk_i32 s8, 0xff90
	s_mov_b32 s9, -1
	v_mov_b32_e32 v97, v231
	s_waitcnt vmcnt(1) lgkmcnt(0)
	v_pk_mul_f32 v[0:1], v[48:49], v[4:5] op_sel:[0,1]
	s_nop 0
	v_pk_fma_f32 v[2:3], v[48:49], v[4:5], v[0:1] op_sel:[0,0,1] op_sel_hi:[1,1,0] neg_lo:[0,0,1] neg_hi:[0,0,1]
	v_pk_fma_f32 v[0:1], v[48:49], v[4:5], v[0:1] op_sel:[0,0,1] op_sel_hi:[1,0,0]
	v_lshlrev_b32_e32 v3, 3, v21
	v_lshrrev_b32_e32 v0, 19, v110
	v_mul_lo_u16_e32 v0, 0xf0, v0
	v_sub_u16_e32 v0, v53, v0
	v_lshlrev_b32_e32 v0, 3, v0
	global_load_dwordx2 v[200:201], v3, s[10:11] offset:1840
	global_load_dwordx2 v[254:255], v0, s[10:11] offset:1840
	v_accvgpr_write_b32 a167, v5
	v_accvgpr_write_b32 a166, v4
	v_lshrrev_b32_e32 v3, 19, v105
	v_add_u32_e32 v0, 0x5a00, v0
	v_accvgpr_write_b32 a179, v0
	s_waitcnt vmcnt(1)
	v_pk_mul_f32 v[4:5], v[46:47], v[200:201] op_sel:[0,1]
	s_nop 0
	v_pk_fma_f32 v[6:7], v[46:47], v[200:201], v[4:5] op_sel:[0,0,1] op_sel_hi:[1,1,0] neg_lo:[0,0,1] neg_hi:[0,0,1]
	v_pk_fma_f32 v[4:5], v[46:47], v[200:201], v[4:5] op_sel:[0,0,1] op_sel_hi:[1,0,0]
	ds_read2st64_b64 v[46:49], v96 offset0:52 offset1:54
	v_mul_lo_u16_e32 v4, 0xf0, v3
	v_sub_u16_e32 v4, v94, v4
	v_lshlrev_b32_e32 v7, 3, v4
	global_load_dwordx2 v[212:213], v7, s[10:11] offset:1840
	v_lshrrev_b32_e32 v7, 19, v106
	v_mul_lo_u16_e32 v7, 0xf0, v7
	v_sub_u16_e32 v7, v92, v7
	v_lshlrev_b32_e32 v7, 3, v7
	global_load_dwordx2 v[250:251], v7, s[10:11] offset:1840
	s_waitcnt vmcnt(2) lgkmcnt(0)
	v_pk_mul_f32 v[8:9], v[48:49], v[254:255] op_sel:[0,1]
	v_add_u32_e32 v7, 0x4b00, v7
	v_pk_fma_f32 v[10:11], v[48:49], v[254:255], v[8:9] op_sel:[0,0,1] op_sel_hi:[1,1,0] neg_lo:[0,0,1] neg_hi:[0,0,1]
	v_pk_fma_f32 v[8:9], v[48:49], v[254:255], v[8:9] op_sel:[0,0,1] op_sel_hi:[1,0,0]
	v_accvgpr_write_b32 a177, v7
	v_lshrrev_b32_e32 v8, 19, v107
	v_mul_lo_u16_e32 v11, 0xf0, v8
	v_sub_u16_e32 v11, v51, v11
	s_waitcnt vmcnt(1)
	v_pk_mul_f32 v[12:13], v[46:47], v[212:213] op_sel:[0,1]
	s_nop 0
	v_pk_fma_f32 v[14:15], v[46:47], v[212:213], v[12:13] op_sel:[0,0,1] op_sel_hi:[1,1,0] neg_lo:[0,0,1] neg_hi:[0,0,1]
	v_pk_fma_f32 v[12:13], v[46:47], v[212:213], v[12:13] op_sel:[0,0,1] op_sel_hi:[1,0,0]
	ds_read2st64_b64 v[46:49], v96 offset0:48 offset1:50
	v_lshrrev_b32_e32 v12, 19, v112
	v_mul_lo_u16_e32 v12, 0xf0, v12
	v_sub_u16_e32 v12, v93, v12
	v_lshlrev_b32_e32 v15, 3, v11
	s_waitcnt vmcnt(0) lgkmcnt(0)
	v_pk_mul_f32 v[16:17], v[48:49], v[250:251] op_sel:[0,1]
	v_lshlrev_b32_e32 v12, 3, v12
	global_load_dwordx2 v[218:219], v15, s[10:11] offset:1840
	global_load_dwordx2 v[240:241], v12, s[10:11] offset:1840
	v_pk_fma_f32 v[18:19], v[48:49], v[250:251], v[16:17] op_sel:[0,0,1] op_sel_hi:[1,1,0] neg_lo:[0,0,1] neg_hi:[0,0,1]
	v_pk_fma_f32 v[16:17], v[48:49], v[250:251], v[16:17] op_sel:[0,0,1] op_sel_hi:[1,0,0]
	v_lshrrev_b32_e32 v15, 18, v114
	v_lshrrev_b32_e32 v16, 18, v111
	v_mul_lo_u16_e32 v19, 0xf0, v16
	v_sub_u16_e32 v19, v50, v19
	v_lshlrev_b32_e32 v23, 3, v19
	global_load_dwordx2 v[246:247], v23, s[10:11] offset:1840
	v_mul_lo_u16_e32 v15, 0xf0, v15
	v_sub_u16_e32 v15, v55, v15
	v_lshlrev_b32_e32 v15, 3, v15
	global_load_dwordx2 v[236:237], v15, s[10:11] offset:1840
	v_lshrrev_b32_e32 v23, 18, v113
	v_mul_lo_u16_e32 v24, 0xf0, v23
	v_sub_u16_e32 v24, v103, v24
	v_mov_b32_e32 v55, v231
	v_cmp_gt_u64_e32 vcc, s[12:13], v[54:55]
	v_add_u32_e32 v15, 0x2d00, v15
	v_accvgpr_write_b32 a173, v15
	v_add_u32_e32 v12, 0x3c00, v12
	v_accvgpr_write_b32 a175, v12
	s_movk_i32 s12, 0xffa0
	s_mov_b32 s13, -1
	s_waitcnt vmcnt(3)
	v_pk_mul_f32 v[42:43], v[46:47], v[218:219] op_sel:[0,1]
	s_nop 0
	v_pk_fma_f32 v[64:65], v[46:47], v[218:219], v[42:43] op_sel:[0,0,1] op_sel_hi:[1,1,0] neg_lo:[0,0,1] neg_hi:[0,0,1]
	v_pk_fma_f32 v[130:131], v[46:47], v[218:219], v[42:43] op_sel:[0,0,1] op_sel_hi:[1,0,0]
	ds_read2st64_b64 v[46:49], v96 offset0:44 offset1:46
	s_waitcnt vmcnt(2) lgkmcnt(0)
	v_pk_mul_f32 v[42:43], v[48:49], v[240:241] op_sel:[0,1]
	s_nop 0
	v_pk_fma_f32 v[132:133], v[48:49], v[240:241], v[42:43] op_sel:[0,0,1] op_sel_hi:[1,1,0] neg_lo:[0,0,1] neg_hi:[0,0,1]
	v_pk_fma_f32 v[134:135], v[48:49], v[240:241], v[42:43] op_sel:[0,0,1] op_sel_hi:[1,0,0]
	s_waitcnt vmcnt(1)
	v_pk_mul_f32 v[42:43], v[46:47], v[246:247] op_sel:[0,1]
	v_mov_b32_e32 v133, v135
	v_pk_fma_f32 v[136:137], v[46:47], v[246:247], v[42:43] op_sel:[0,0,1] op_sel_hi:[1,1,0] neg_lo:[0,0,1] neg_hi:[0,0,1]
	v_pk_fma_f32 v[138:139], v[46:47], v[246:247], v[42:43] op_sel:[0,0,1] op_sel_hi:[1,0,0]
	ds_read2st64_b64 v[46:49], v96 offset0:40 offset1:42
	v_mov_b32_e32 v137, v139
	s_waitcnt vmcnt(0) lgkmcnt(0)
	v_pk_mul_f32 v[42:43], v[48:49], v[236:237] op_sel:[0,1]
	s_nop 0
	v_pk_fma_f32 v[140:141], v[48:49], v[236:237], v[42:43] op_sel:[0,0,1] op_sel_hi:[1,1,0] neg_lo:[0,0,1] neg_hi:[0,0,1]
	v_pk_fma_f32 v[48:49], v[48:49], v[236:237], v[42:43] op_sel:[0,0,1] op_sel_hi:[1,0,0]
	v_lshlrev_b32_e32 v42, 3, v24
	global_load_dwordx2 v[244:245], v42, s[10:11] offset:1840
	global_load_dwordx2 v[234:235], v25, s[10:11] offset:1840
	v_lshrrev_b32_e32 v48, 17, v44
	global_load_dwordx2 v[248:249], v96, s[10:11] offset:1968
	v_add_u32_e32 v25, 0x1e00, v25
	v_mov_b32_e32 v141, v49
	v_accvgpr_write_b32 a171, v25
	s_waitcnt vmcnt(2)
	v_pk_mul_f32 v[42:43], v[46:47], v[244:245] op_sel:[0,1]
	s_nop 0
	v_pk_fma_f32 v[142:143], v[46:47], v[244:245], v[42:43] op_sel:[0,0,1] op_sel_hi:[1,1,0] neg_lo:[0,0,1] neg_hi:[0,0,1]
	v_pk_fma_f32 v[144:145], v[46:47], v[244:245], v[42:43] op_sel:[0,0,1] op_sel_hi:[1,0,0]
	v_lshl_add_u64 v[42:43], v[230:231], 0, s[8:9]
	v_cndmask_b32_e32 v146, v42, v54, vcc
	v_mul_lo_u16_e32 v42, 0xf0, v48
	v_sub_u16_e32 v65, v52, v42
	v_lshlrev_b32_e32 v42, 3, v65
	v_cndmask_b32_e64 v147, v43, 0, vcc
	global_load_dwordx2 v[242:243], v42, s[10:11] offset:1840
	ds_read2st64_b64 v[42:45], v96 offset0:36 offset1:38
	s_mov_b64 s[8:9], 0xef
	v_cmp_lt_u64_e32 vcc, s[8:9], v[54:55]
	s_movk_i32 s8, 0x1e0
	v_mad_legacy_u16 v48, v48, s8, v65
	s_waitcnt vmcnt(2) lgkmcnt(0)
	v_pk_mul_f32 v[46:47], v[44:45], v[234:235] op_sel:[0,1]
	v_lshlrev_b32_e32 v48, 3, v48
	v_pk_fma_f32 v[156:157], v[44:45], v[234:235], v[46:47] op_sel:[0,0,1] op_sel_hi:[1,1,0] neg_lo:[0,0,1] neg_hi:[0,0,1]
	v_pk_fma_f32 v[158:159], v[44:45], v[234:235], v[46:47] op_sel:[0,0,1] op_sel_hi:[1,0,0]
	v_lshl_add_u64 v[44:45], v[146:147], 3, s[10:11]
	global_load_dwordx2 v[238:239], v[44:45], off offset:1840
	v_mov_b32_e32 v157, v159
	v_mov_b32_e32 v143, v145
	v_mad_legacy_u16 v23, v23, s8, v24
	v_lshlrev_b32_e32 v23, 3, v23
	v_mov_b32_e32 v65, v131
	v_mad_legacy_u16 v8, v8, s8, v11
	v_lshlrev_b32_e32 v8, 3, v8
	v_mov_b32_e32 v11, v9
	v_accvgpr_write_b32 a176, v8
	v_mad_legacy_u16 v3, v3, s8, v4
	v_lshlrev_b32_e32 v3, 3, v3
	v_accvgpr_write_b32 a178, v3
	v_accvgpr_write_b32 a170, v48
	v_accvgpr_write_b32 a172, v23
	s_movk_i32 s9, 0x3c0
	s_waitcnt vmcnt(1)
	v_pk_mul_f32 v[44:45], v[42:43], v[242:243] op_sel:[0,1]
	s_nop 0
	v_pk_fma_f32 v[160:161], v[42:43], v[242:243], v[44:45] op_sel:[0,0,1] op_sel_hi:[1,1,0] neg_lo:[0,0,1] neg_hi:[0,0,1]
	v_pk_fma_f32 v[162:163], v[42:43], v[242:243], v[44:45] op_sel:[0,0,1] op_sel_hi:[1,0,0]
	ds_read2st64_b64 v[42:45], v96 offset0:32 offset1:34
	v_mov_b32_e32 v161, v163
	s_waitcnt lgkmcnt(0)
	v_pk_mul_f32 v[46:47], v[44:45], v[248:249] op_sel:[0,1]
	s_nop 0
	v_pk_fma_f32 v[164:165], v[44:45], v[248:249], v[46:47] op_sel:[0,0,1] op_sel_hi:[1,1,0] neg_lo:[0,0,1] neg_hi:[0,0,1]
	v_pk_fma_f32 v[166:167], v[44:45], v[248:249], v[46:47] op_sel:[0,0,1] op_sel_hi:[1,0,0]
	s_waitcnt vmcnt(0)
	v_pk_mul_f32 v[44:45], v[42:43], v[238:239] op_sel:[0,1]
	v_mov_b32_e32 v165, v167
	v_pk_fma_f32 v[168:169], v[42:43], v[238:239], v[44:45] op_sel:[0,0,1] op_sel_hi:[1,1,0] neg_lo:[0,0,1] neg_hi:[0,0,1]
	v_pk_fma_f32 v[170:171], v[42:43], v[238:239], v[44:45] op_sel:[0,0,1] op_sel_hi:[1,0,0]
	ds_read2st64_b64 v[42:45], v96 offset0:28 offset1:30
	v_mov_b32_e32 v169, v171
	s_waitcnt lgkmcnt(0)
	v_pk_mul_f32 v[46:47], v[44:45], v[232:233] op_sel:[0,1]
	s_nop 0
	v_pk_fma_f32 v[56:57], v[44:45], v[232:233], v[46:47] op_sel:[0,0,1] op_sel_hi:[1,1,0] neg_lo:[0,0,1] neg_hi:[0,0,1]
	v_pk_fma_f32 v[44:45], v[44:45], v[232:233], v[46:47] op_sel:[0,0,1] op_sel_hi:[1,0,0]
	s_nop 0
	v_mov_b32_e32 v57, v45
	ds_read2st64_b64 v[44:47], v96 offset1:2
	s_waitcnt lgkmcnt(0)
	v_pk_add_f32 v[172:173], v[44:45], v[56:57] neg_lo:[0,1] neg_hi:[0,1]
	s_nop 0
	v_pk_fma_f32 v[44:45], v[44:45], 2.0, v[172:173] op_sel_hi:[1,0,1] neg_lo:[0,0,1] neg_hi:[0,0,1]
	ds_read2st64_b64 v[56:59], v96 offset0:4 offset1:6
	ds_read2st64_b64 v[60:63], v96 offset0:24 offset1:26
	;; [unrolled: 1-line block ×6, first 2 shown]
	s_waitcnt lgkmcnt(0)
	s_barrier
	ds_write2_b64 v96, v[44:45], v[172:173] offset1:240
	v_mov_b32_e32 v44, 0x1e0
	v_cndmask_b32_e32 v44, 0, v44, vcc
	v_add_lshl_u32 v54, v44, v146, 3
	v_pk_add_f32 v[44:45], v[46:47], v[168:169] neg_lo:[0,1] neg_hi:[0,1]
	v_accvgpr_write_b32 a168, v54
	v_pk_fma_f32 v[46:47], v[46:47], 2.0, v[44:45] op_sel_hi:[1,0,1] neg_lo:[0,0,1] neg_hi:[0,0,1]
	ds_write2_b64 v54, v[46:47], v[44:45] offset1:240
	v_pk_add_f32 v[44:45], v[56:57], v[164:165] neg_lo:[0,1] neg_hi:[0,1]
	v_add_u32_e32 v54, 0xf80, v96
	v_pk_fma_f32 v[46:47], v[56:57], 2.0, v[44:45] op_sel_hi:[1,0,1] neg_lo:[0,0,1] neg_hi:[0,0,1]
	ds_write2_b64 v54, v[46:47], v[44:45] offset1:240
	v_pk_add_f32 v[44:45], v[58:59], v[160:161] neg_lo:[0,1] neg_hi:[0,1]
	v_accvgpr_write_b32 a169, v54
	v_pk_fma_f32 v[46:47], v[58:59], 2.0, v[44:45] op_sel_hi:[1,0,1] neg_lo:[0,0,1] neg_hi:[0,0,1]
	ds_write2_b64 v48, v[46:47], v[44:45] offset1:240
	v_pk_add_f32 v[44:45], v[126:127], v[156:157] neg_lo:[0,1] neg_hi:[0,1]
	s_nop 0
	v_pk_fma_f32 v[46:47], v[126:127], 2.0, v[44:45] op_sel_hi:[1,0,1] neg_lo:[0,0,1] neg_hi:[0,0,1]
	ds_write2_b64 v25, v[46:47], v[44:45] offset1:240
	v_pk_add_f32 v[44:45], v[128:129], v[142:143] neg_lo:[0,1] neg_hi:[0,1]
	s_nop 0
	;; [unrolled: 4-line block ×3, first 2 shown]
	v_pk_fma_f32 v[46:47], v[122:123], 2.0, v[44:45] op_sel_hi:[1,0,1] neg_lo:[0,0,1] neg_hi:[0,0,1]
	ds_write2_b64 v15, v[46:47], v[44:45] offset1:240
	v_pk_add_f32 v[44:45], v[124:125], v[136:137] neg_lo:[0,1] neg_hi:[0,1]
	v_mad_legacy_u16 v15, v16, s8, v19
	v_pk_fma_f32 v[46:47], v[124:125], 2.0, v[44:45] op_sel_hi:[1,0,1] neg_lo:[0,0,1] neg_hi:[0,0,1]
	v_lshlrev_b32_e32 v15, 3, v15
	ds_write2_b64 v15, v[46:47], v[44:45] offset1:240
	v_pk_add_f32 v[44:45], v[118:119], v[132:133] neg_lo:[0,1] neg_hi:[0,1]
	v_mov_b32_e32 v19, v17
	v_pk_fma_f32 v[46:47], v[118:119], 2.0, v[44:45] op_sel_hi:[1,0,1] neg_lo:[0,0,1] neg_hi:[0,0,1]
	ds_write2_b64 v12, v[46:47], v[44:45] offset1:240
	v_pk_add_f32 v[44:45], v[120:121], v[64:65] neg_lo:[0,1] neg_hi:[0,1]
	v_accvgpr_write_b32 a174, v15
	v_pk_fma_f32 v[46:47], v[120:121], 2.0, v[44:45] op_sel_hi:[1,0,1] neg_lo:[0,0,1] neg_hi:[0,0,1]
	v_pk_add_f32 v[16:17], v[114:115], v[18:19] neg_lo:[0,1] neg_hi:[0,1]
	v_mov_b32_e32 v15, v13
	ds_write2_b64 v8, v[46:47], v[44:45] offset1:240
	v_pk_fma_f32 v[18:19], v[114:115], 2.0, v[16:17] op_sel_hi:[1,0,1] neg_lo:[0,0,1] neg_hi:[0,0,1]
	v_pk_add_f32 v[12:13], v[116:117], v[14:15] neg_lo:[0,1] neg_hi:[0,1]
	v_pk_add_f32 v[8:9], v[60:61], v[10:11] neg_lo:[0,1] neg_hi:[0,1]
	ds_write2_b64 v7, v[18:19], v[16:17] offset1:240
	v_pk_fma_f32 v[14:15], v[116:117], 2.0, v[12:13] op_sel_hi:[1,0,1] neg_lo:[0,0,1] neg_hi:[0,0,1]
	v_pk_fma_f32 v[10:11], v[60:61], 2.0, v[8:9] op_sel_hi:[1,0,1] neg_lo:[0,0,1] neg_hi:[0,0,1]
	v_mov_b32_e32 v7, v5
	ds_write2_b64 v3, v[14:15], v[12:13] offset1:240
	ds_write2_b64 v0, v[10:11], v[8:9] offset1:240
	v_pk_add_f32 v[4:5], v[62:63], v[6:7] neg_lo:[0,1] neg_hi:[0,1]
	v_mad_legacy_u16 v0, v20, s8, v21
	v_pk_fma_f32 v[6:7], v[62:63], 2.0, v[4:5] op_sel_hi:[1,0,1] neg_lo:[0,0,1] neg_hi:[0,0,1]
	v_lshlrev_b32_e32 v0, 3, v0
	v_mov_b32_e32 v3, v1
	ds_write2_b64 v0, v[6:7], v[4:5] offset1:240
	v_accvgpr_write_b32 a180, v0
	v_pk_add_f32 v[0:1], v[42:43], v[2:3] neg_lo:[0,1] neg_hi:[0,1]
	s_movk_i32 s8, 0x1000
	v_pk_fma_f32 v[2:3], v[42:43], 2.0, v[0:1] op_sel_hi:[1,0,1] neg_lo:[0,0,1] neg_hi:[0,0,1]
	v_lshl_add_u64 v[42:43], s[10:11], 0, v[96:97]
	v_add_co_u32_e32 v44, vcc, s8, v42
	v_add_u32_e32 v4, 0x6900, v22
	s_nop 0
	v_addc_co_u32_e32 v45, vcc, 0, v43, vcc
	ds_write2_b64 v4, v[2:3], v[0:1] offset1:240
	s_waitcnt lgkmcnt(0)
	s_barrier
	global_load_dwordx2 v[252:253], v[44:45], off offset:688
	global_load_dwordx2 v[190:191], v[44:45], off offset:1712
	;; [unrolled: 1-line block ×3, first 2 shown]
	ds_read2st64_b64 v[46:49], v96 offset0:32 offset1:34
	global_load_dwordx2 v[182:183], v[44:45], off offset:1968
	ds_read2st64_b64 v[54:57], v96 offset0:40 offset1:42
	v_accvgpr_write_b32 a181, v4
	s_waitcnt vmcnt(3) lgkmcnt(1)
	v_pk_mul_f32 v[0:1], v[46:47], v[252:253] op_sel:[0,1]
	s_nop 0
	v_pk_fma_f32 v[2:3], v[46:47], v[252:253], v[0:1] op_sel:[0,0,1] op_sel_hi:[1,1,0] neg_lo:[0,0,1] neg_hi:[0,0,1]
	s_waitcnt vmcnt(2)
	v_pk_mul_f32 v[4:5], v[48:49], v[190:191] op_sel:[0,1]
	v_lshrrev_b32_e32 v3, 20, v109
	v_mul_lo_u16_e32 v3, 0x1e0, v3
	v_sub_u16_e32 v3, v102, v3
	v_lshlrev_b32_e32 v21, 3, v3
	global_load_dwordx2 v[180:181], v21, s[10:11] offset:3760
	global_load_dwordx2 v[186:187], v96, s[10:11] offset:3760
	v_pk_fma_f32 v[0:1], v[46:47], v[252:253], v[0:1] op_sel:[0,0,1] op_sel_hi:[1,0,0]
	v_pk_fma_f32 v[46:47], v[48:49], v[190:191], v[4:5] op_sel:[0,0,1] op_sel_hi:[1,1,0] neg_lo:[0,0,1] neg_hi:[0,0,1]
	v_pk_fma_f32 v[48:49], v[48:49], v[190:191], v[4:5] op_sel:[0,0,1] op_sel_hi:[1,0,0]
	s_waitcnt vmcnt(3) lgkmcnt(0)
	v_pk_mul_f32 v[4:5], v[54:55], v[192:193] op_sel:[0,1]
	s_waitcnt vmcnt(2)
	v_pk_mul_f32 v[8:9], v[56:57], v[182:183] op_sel:[0,1]
	v_pk_fma_f32 v[6:7], v[54:55], v[192:193], v[4:5] op_sel:[0,0,1] op_sel_hi:[1,1,0] neg_lo:[0,0,1] neg_hi:[0,0,1]
	v_pk_fma_f32 v[4:5], v[54:55], v[192:193], v[4:5] op_sel:[0,0,1] op_sel_hi:[1,0,0]
	v_lshrrev_b32_e32 v0, 20, v108
	v_pk_fma_f32 v[10:11], v[56:57], v[182:183], v[8:9] op_sel:[0,0,1] op_sel_hi:[1,1,0] neg_lo:[0,0,1] neg_hi:[0,0,1]
	v_pk_fma_f32 v[8:9], v[56:57], v[182:183], v[8:9] op_sel:[0,0,1] op_sel_hi:[1,0,0]
	v_mul_lo_u16_e32 v0, 0x1e0, v0
	v_lshrrev_b32_e32 v4, 20, v110
	ds_read2st64_b64 v[54:57], v96 offset0:56 offset1:58
	v_sub_u16_e32 v0, v95, v0
	v_mul_lo_u16_e32 v4, 0x1e0, v4
	v_sub_u16_e32 v4, v53, v4
	v_lshlrev_b32_e32 v22, 3, v0
	v_lshlrev_b32_e32 v23, 3, v4
	global_load_dwordx2 v[142:143], v22, s[10:11] offset:3760
	global_load_dwordx2 v[160:161], v23, s[10:11] offset:3760
	v_lshrrev_b32_e32 v8, 20, v105
	v_mul_lo_u16_e32 v0, 0x1e0, v8
	v_mov_b32_e32 v53, v231
	v_cmp_gt_u64_e32 vcc, s[14:15], v[52:53]
	v_mov_b32_e32 v47, v49
	v_add_u32_e32 v4, 0x800, v96
	v_mov_b32_e32 v7, v5
	v_accvgpr_write_b32 a183, v4
	s_mov_b64 s[14:15], 0x3c0
	v_accvgpr_write_b32 a188, v23
	v_accvgpr_write_b32 a189, v22
	;; [unrolled: 1-line block ×3, first 2 shown]
	s_waitcnt vmcnt(3) lgkmcnt(0)
	v_pk_mul_f32 v[12:13], v[56:57], v[180:181] op_sel:[0,1]
	s_nop 0
	v_pk_fma_f32 v[14:15], v[56:57], v[180:181], v[12:13] op_sel:[0,0,1] op_sel_hi:[1,1,0] neg_lo:[0,0,1] neg_hi:[0,0,1]
	v_pk_fma_f32 v[12:13], v[56:57], v[180:181], v[12:13] op_sel:[0,0,1] op_sel_hi:[1,0,0]
	s_waitcnt vmcnt(1)
	v_pk_mul_f32 v[16:17], v[54:55], v[142:143] op_sel:[0,1]
	v_sub_u16_e32 v12, v94, v0
	v_lshlrev_b32_e32 v3, 3, v12
	global_load_dwordx2 v[208:209], v3, s[10:11] offset:3760
	v_pk_fma_f32 v[18:19], v[54:55], v[142:143], v[16:17] op_sel:[0,0,1] op_sel_hi:[1,1,0] neg_lo:[0,0,1] neg_hi:[0,0,1]
	v_pk_fma_f32 v[16:17], v[54:55], v[142:143], v[16:17] op_sel:[0,0,1] op_sel_hi:[1,0,0]
	v_lshrrev_b32_e32 v0, 20, v106
	ds_read2st64_b64 v[54:57], v96 offset0:52 offset1:54
	v_mul_lo_u16_e32 v0, 0x1e0, v0
	v_sub_u16_e32 v0, v92, v0
	v_lshlrev_b32_e32 v24, 3, v0
	global_load_dwordx2 v[164:165], v24, s[10:11] offset:3760
	v_lshrrev_b32_e32 v0, 20, v107
	v_mul_lo_u16_e32 v0, 0x1e0, v0
	v_lshrrev_b32_e32 v3, 20, v112
	s_waitcnt vmcnt(2) lgkmcnt(0)
	v_pk_mul_f32 v[58:59], v[56:57], v[160:161] op_sel:[0,1]
	v_sub_u16_e32 v0, v51, v0
	v_mul_lo_u16_e32 v3, 0x1e0, v3
	v_pk_fma_f32 v[64:65], v[56:57], v[160:161], v[58:59] op_sel:[0,0,1] op_sel_hi:[1,1,0] neg_lo:[0,0,1] neg_hi:[0,0,1]
	v_pk_fma_f32 v[114:115], v[56:57], v[160:161], v[58:59] op_sel:[0,0,1] op_sel_hi:[1,0,0]
	v_sub_u16_e32 v3, v93, v3
	v_lshlrev_b32_e32 v25, 3, v0
	v_lshlrev_b32_e32 v97, 3, v3
	v_lshrrev_b32_e32 v16, 19, v111
	v_mul_lo_u16_e32 v0, 0x1e0, v16
	v_sub_u16_e32 v20, v50, v0
	v_lshlrev_b32_e32 v0, 3, v20
	v_mov_b32_e32 v3, v1
	v_mov_b32_e32 v65, v115
	;; [unrolled: 1-line block ×4, first 2 shown]
	v_accvgpr_write_b32 a184, v25
	v_accvgpr_write_b32 a185, v24
	s_waitcnt vmcnt(1)
	v_pk_mul_f32 v[56:57], v[54:55], v[208:209] op_sel:[0,1]
	s_nop 0
	v_pk_fma_f32 v[116:117], v[54:55], v[208:209], v[56:57] op_sel:[0,0,1] op_sel_hi:[1,1,0] neg_lo:[0,0,1] neg_hi:[0,0,1]
	v_pk_fma_f32 v[118:119], v[54:55], v[208:209], v[56:57] op_sel:[0,0,1] op_sel_hi:[1,0,0]
	ds_read2st64_b64 v[54:57], v96 offset0:48 offset1:50
	global_load_dwordx2 v[158:159], v25, s[10:11] offset:3760
	global_load_dwordx2 v[168:169], v97, s[10:11] offset:3760
	;; [unrolled: 1-line block ×4, first 2 shown]
	v_mov_b32_e32 v117, v119
	s_waitcnt vmcnt(4) lgkmcnt(0)
	v_pk_mul_f32 v[58:59], v[56:57], v[164:165] op_sel:[0,1]
	s_nop 0
	v_pk_fma_f32 v[120:121], v[56:57], v[164:165], v[58:59] op_sel:[0,0,1] op_sel_hi:[1,1,0] neg_lo:[0,0,1] neg_hi:[0,0,1]
	v_pk_fma_f32 v[122:123], v[56:57], v[164:165], v[58:59] op_sel:[0,0,1] op_sel_hi:[1,0,0]
	s_waitcnt vmcnt(3)
	v_pk_mul_f32 v[56:57], v[54:55], v[158:159] op_sel:[0,1]
	s_nop 0
	v_pk_fma_f32 v[124:125], v[54:55], v[158:159], v[56:57] op_sel:[0,0,1] op_sel_hi:[1,1,0] neg_lo:[0,0,1] neg_hi:[0,0,1]
	v_pk_fma_f32 v[126:127], v[54:55], v[158:159], v[56:57] op_sel:[0,0,1] op_sel_hi:[1,0,0]
	v_lshl_add_u64 v[54:55], v[230:231], 0, s[12:13]
	v_cndmask_b32_e32 v128, v54, v52, vcc
	v_cndmask_b32_e64 v129, v55, 0, vcc
	ds_read2st64_b64 v[54:57], v96 offset0:44 offset1:46
	s_mov_b64 s[12:13], 0x1df
	v_cmp_lt_u64_e32 vcc, s[12:13], v[52:53]
	v_mov_b32_e32 v125, v127
	v_mov_b32_e32 v121, v123
	s_waitcnt vmcnt(2) lgkmcnt(0)
	v_pk_mul_f32 v[58:59], v[56:57], v[168:169] op_sel:[0,1]
	s_movk_i32 s12, 0xffc0
	v_pk_fma_f32 v[130:131], v[56:57], v[168:169], v[58:59] op_sel:[0,0,1] op_sel_hi:[1,1,0] neg_lo:[0,0,1] neg_hi:[0,0,1]
	v_pk_fma_f32 v[132:133], v[56:57], v[168:169], v[58:59] op_sel:[0,0,1] op_sel_hi:[1,0,0]
	v_lshl_add_u64 v[56:57], v[128:129], 3, s[10:11]
	global_load_dwordx2 v[172:173], v[56:57], off offset:3760
	s_waitcnt vmcnt(2)
	v_pk_mul_f32 v[56:57], v[54:55], v[162:163] op_sel:[0,1]
	v_mov_b32_e32 v131, v133
	v_pk_fma_f32 v[134:135], v[54:55], v[162:163], v[56:57] op_sel:[0,0,1] op_sel_hi:[1,1,0] neg_lo:[0,0,1] neg_hi:[0,0,1]
	v_pk_fma_f32 v[136:137], v[54:55], v[162:163], v[56:57] op_sel:[0,0,1] op_sel_hi:[1,0,0]
	ds_read2st64_b64 v[54:57], v96 offset0:36 offset1:38
	v_mov_b32_e32 v135, v137
	s_mov_b32 s13, -1
	s_waitcnt vmcnt(1) lgkmcnt(0)
	v_pk_mul_f32 v[58:59], v[56:57], v[166:167] op_sel:[0,1]
	s_nop 0
	v_pk_fma_f32 v[138:139], v[56:57], v[166:167], v[58:59] op_sel:[0,0,1] op_sel_hi:[1,1,0] neg_lo:[0,0,1] neg_hi:[0,0,1]
	v_pk_fma_f32 v[140:141], v[56:57], v[166:167], v[58:59] op_sel:[0,0,1] op_sel_hi:[1,0,0]
	s_waitcnt vmcnt(0)
	v_pk_mul_f32 v[56:57], v[54:55], v[172:173] op_sel:[0,1]
	s_nop 0
	v_pk_fma_f32 v[144:145], v[54:55], v[172:173], v[56:57] op_sel:[0,0,1] op_sel_hi:[1,1,0] neg_lo:[0,0,1] neg_hi:[0,0,1]
	v_pk_fma_f32 v[146:147], v[54:55], v[172:173], v[56:57] op_sel:[0,0,1] op_sel_hi:[1,0,0]
	ds_read2st64_b64 v[54:57], v96 offset0:28 offset1:30
	v_mov_b32_e32 v139, v141
	v_mov_b32_e32 v145, v147
	s_waitcnt lgkmcnt(0)
	v_pk_mul_f32 v[58:59], v[56:57], v[186:187] op_sel:[0,1]
	s_nop 0
	v_pk_fma_f32 v[60:61], v[56:57], v[186:187], v[58:59] op_sel:[0,0,1] op_sel_hi:[1,1,0] neg_lo:[0,0,1] neg_hi:[0,0,1]
	v_pk_fma_f32 v[56:57], v[56:57], v[186:187], v[58:59] op_sel:[0,0,1] op_sel_hi:[1,0,0]
	s_nop 0
	v_mov_b32_e32 v61, v57
	ds_read2st64_b64 v[56:59], v96 offset1:2
	s_waitcnt lgkmcnt(0)
	v_pk_add_f32 v[0:1], v[56:57], v[60:61] neg_lo:[0,1] neg_hi:[0,1]
	v_pk_add_f32 v[2:3], v[58:59], v[2:3] neg_lo:[0,1] neg_hi:[0,1]
	v_pk_fma_f32 v[156:157], v[56:57], 2.0, v[0:1] op_sel_hi:[1,0,1] neg_lo:[0,0,1] neg_hi:[0,0,1]
	v_pk_fma_f32 v[170:171], v[58:59], 2.0, v[2:3] op_sel_hi:[1,0,1] neg_lo:[0,0,1] neg_hi:[0,0,1]
	ds_read2st64_b64 v[56:59], v96 offset0:4 offset1:6
	ds_read2st64_b64 v[60:63], v96 offset0:8 offset1:10
	;; [unrolled: 1-line block ×6, first 2 shown]
	s_waitcnt lgkmcnt(5)
	v_pk_add_f32 v[46:47], v[56:57], v[46:47] neg_lo:[0,1] neg_hi:[0,1]
	s_waitcnt lgkmcnt(0)
	v_pk_fma_f32 v[48:49], v[56:57], 2.0, v[46:47] op_sel_hi:[1,0,1] neg_lo:[0,0,1] neg_hi:[0,0,1]
	s_barrier
	ds_write2_b64 v4, v[48:49], v[0:1] offset1:224
	v_add_u32_e32 v0, 0x100, v96
	ds_write2st64_b64 v0, v[2:3], v[46:47] offset0:9 offset1:11
	v_mov_b32_e32 v11, v0
	v_mov_b32_e32 v0, 0x3c0
	v_cndmask_b32_e32 v0, 0, v0, vcc
	v_add_lshl_u32 v15, v0, v128, 3
	v_pk_add_f32 v[0:1], v[60:61], v[138:139] neg_lo:[0,1] neg_hi:[0,1]
	v_pk_add_f32 v[2:3], v[62:63], v[6:7] neg_lo:[0,1] neg_hi:[0,1]
	;; [unrolled: 1-line block ×3, first 2 shown]
	v_pk_fma_f32 v[4:5], v[60:61], 2.0, v[0:1] op_sel_hi:[1,0,1] neg_lo:[0,0,1] neg_hi:[0,0,1]
	v_pk_fma_f32 v[6:7], v[62:63], 2.0, v[2:3] op_sel_hi:[1,0,1] neg_lo:[0,0,1] neg_hi:[0,0,1]
	;; [unrolled: 1-line block ×3, first 2 shown]
	ds_write2st64_b64 v96, v[156:157], v[170:171] offset1:2
	ds_write_b64 v15, v[48:49]
	ds_write_b64 v15, v[46:47] offset:3840
	ds_write2st64_b64 v11, v[4:5], v[6:7] offset0:15 offset1:17
	v_accvgpr_write_b32 a182, v11
	v_mov_b32_e32 v11, v9
	v_pk_add_f32 v[4:5], v[92:93], v[10:11] neg_lo:[0,1] neg_hi:[0,1]
	v_add_u32_e32 v9, 0x2700, v96
	v_pk_fma_f32 v[6:7], v[92:93], 2.0, v[4:5] op_sel_hi:[1,0,1] neg_lo:[0,0,1] neg_hi:[0,0,1]
	ds_write2_b64 v9, v[6:7], v[0:1] offset1:224
	ds_write2st64_b64 v96, v[2:3], v[4:5] offset0:25 offset1:27
	v_pk_add_f32 v[0:1], v[94:95], v[134:135] neg_lo:[0,1] neg_hi:[0,1]
	v_mad_legacy_u16 v4, v16, s9, v20
	v_pk_fma_f32 v[2:3], v[94:95], 2.0, v[0:1] op_sel_hi:[1,0,1] neg_lo:[0,0,1] neg_hi:[0,0,1]
	v_lshlrev_b32_e32 v4, 3, v4
	ds_write_b64 v4, v[2:3]
	ds_write_b64 v4, v[0:1] offset:3840
	v_pk_add_f32 v[0:1], v[110:111], v[130:131] neg_lo:[0,1] neg_hi:[0,1]
	v_accvgpr_write_b32 a192, v4
	v_pk_fma_f32 v[2:3], v[110:111], 2.0, v[0:1] op_sel_hi:[1,0,1] neg_lo:[0,0,1] neg_hi:[0,0,1]
	ds_write_b64 v97, v[2:3] offset:15360
	ds_write_b64 v97, v[0:1] offset:19200
	v_pk_add_f32 v[0:1], v[112:113], v[124:125] neg_lo:[0,1] neg_hi:[0,1]
	v_mad_legacy_u16 v4, v8, s9, v12
	v_pk_fma_f32 v[2:3], v[112:113], 2.0, v[0:1] op_sel_hi:[1,0,1] neg_lo:[0,0,1] neg_hi:[0,0,1]
	ds_write_b64 v25, v[2:3] offset:15360
	ds_write_b64 v25, v[0:1] offset:19200
	v_pk_add_f32 v[0:1], v[106:107], v[120:121] neg_lo:[0,1] neg_hi:[0,1]
	v_lshlrev_b32_e32 v4, 3, v4
	v_pk_fma_f32 v[2:3], v[106:107], 2.0, v[0:1] op_sel_hi:[1,0,1] neg_lo:[0,0,1] neg_hi:[0,0,1]
	ds_write_b64 v24, v[2:3] offset:15360
	ds_write_b64 v24, v[0:1] offset:19200
	v_pk_add_f32 v[0:1], v[108:109], v[116:117] neg_lo:[0,1] neg_hi:[0,1]
	v_accvgpr_write_b32 a191, v15
	v_pk_fma_f32 v[2:3], v[108:109], 2.0, v[0:1] op_sel_hi:[1,0,1] neg_lo:[0,0,1] neg_hi:[0,0,1]
	ds_write_b64 v4, v[2:3]
	ds_write_b64 v4, v[0:1] offset:3840
	v_pk_add_f32 v[0:1], v[102:103], v[64:65] neg_lo:[0,1] neg_hi:[0,1]
	v_mov_b32_e32 v15, v13
	v_pk_fma_f32 v[2:3], v[102:103], 2.0, v[0:1] op_sel_hi:[1,0,1] neg_lo:[0,0,1] neg_hi:[0,0,1]
	ds_write_b64 v23, v[2:3] offset:23040
	ds_write_b64 v23, v[0:1] offset:26880
	v_pk_add_f32 v[0:1], v[104:105], v[18:19] neg_lo:[0,1] neg_hi:[0,1]
	s_movk_i32 s9, 0x2000
	v_pk_fma_f32 v[2:3], v[104:105], 2.0, v[0:1] op_sel_hi:[1,0,1] neg_lo:[0,0,1] neg_hi:[0,0,1]
	ds_write_b64 v22, v[2:3] offset:23040
	ds_write_b64 v22, v[0:1] offset:26880
	v_pk_add_f32 v[0:1], v[54:55], v[14:15] neg_lo:[0,1] neg_hi:[0,1]
	v_lshl_add_u64 v[18:19], v[230:231], 0, s[12:13]
	v_pk_fma_f32 v[2:3], v[54:55], 2.0, v[0:1] op_sel_hi:[1,0,1] neg_lo:[0,0,1] neg_hi:[0,0,1]
	ds_write_b64 v21, v[2:3] offset:23040
	ds_write_b64 v21, v[0:1] offset:26880
	v_add_co_u32_e32 v0, vcc, s9, v42
	s_waitcnt lgkmcnt(0)
	s_nop 0
	v_addc_co_u32_e32 v1, vcc, 0, v43, vcc
	s_barrier
	global_load_dwordx2 v[210:211], v[0:1], off offset:432
	global_load_dwordx2 v[184:185], v[0:1], off offset:944
	;; [unrolled: 1-line block ×3, first 2 shown]
	ds_read2st64_b64 v[46:49], v96 offset0:32 offset1:34
	global_load_dwordx2 v[188:189], v[0:1], off offset:1456
	global_load_dwordx2 v[144:145], v[0:1], off offset:2480
	;; [unrolled: 1-line block ×3, first 2 shown]
	s_movk_i32 s9, 0x3000
	ds_read2st64_b64 v[52:55], v96 offset0:36 offset1:38
	v_accvgpr_write_b32 a186, v9
	v_accvgpr_write_b32 a187, v4
	s_mov_b32 s12, 0x3f4f1bbd
	s_mov_b32 s21, s12
	s_waitcnt vmcnt(5) lgkmcnt(1)
	v_pk_mul_f32 v[2:3], v[46:47], v[210:211] op_sel:[0,1]
	s_nop 0
	v_pk_fma_f32 v[60:61], v[46:47], v[210:211], v[2:3] op_sel:[0,0,1] op_sel_hi:[1,1,0] neg_lo:[0,0,1] neg_hi:[0,0,1]
	v_pk_fma_f32 v[58:59], v[46:47], v[210:211], v[2:3] op_sel:[0,0,1] op_sel_hi:[1,0,0]
	v_add_co_u32_e32 v46, vcc, s9, v42
	s_waitcnt vmcnt(2)
	v_pk_mul_f32 v[6:7], v[48:49], v[188:189] op_sel:[0,1]
	v_addc_co_u32_e32 v47, vcc, 0, v43, vcc
	global_load_dwordx2 v[136:137], v[0:1], off offset:3504
	global_load_dwordx2 v[132:133], v[46:47], off offset:432
	global_load_dwordx2 v[170:171], v[0:1], off offset:4016
	v_cmp_gt_u64_e32 vcc, s[14:15], v[50:51]
	v_pk_fma_f32 v[8:9], v[48:49], v[188:189], v[6:7] op_sel:[0,0,1] op_sel_hi:[1,1,0] neg_lo:[0,0,1] neg_hi:[0,0,1]
	v_pk_fma_f32 v[22:23], v[48:49], v[188:189], v[6:7] op_sel:[0,0,1] op_sel_hi:[1,0,0]
	v_cndmask_b32_e32 v18, v18, v50, vcc
	v_cndmask_b32_e64 v19, v19, 0, vcc
	v_lshl_add_u64 v[48:49], v[18:19], 3, s[10:11]
	v_add_co_u32_e32 v48, vcc, s8, v48
	s_waitcnt vmcnt(4) lgkmcnt(0)
	v_pk_mul_f32 v[10:11], v[52:53], v[144:145] op_sel:[0,1]
	v_addc_co_u32_e32 v49, vcc, 0, v49, vcc
	v_pk_fma_f32 v[12:13], v[52:53], v[144:145], v[10:11] op_sel:[0,0,1] op_sel_hi:[1,1,0] neg_lo:[0,0,1] neg_hi:[0,0,1]
	v_pk_fma_f32 v[20:21], v[52:53], v[144:145], v[10:11] op_sel:[0,0,1] op_sel_hi:[1,0,0]
	v_mov_b32_e32 v61, v59
	v_mov_b32_e32 v9, v23
	;; [unrolled: 1-line block ×3, first 2 shown]
	s_mov_b64 s[8:9], 0x3bf
	v_cmp_lt_u64_e32 vcc, s[8:9], v[50:51]
	s_movk_i32 s8, 0x4000
	s_mov_b32 s10, 0x3f167918
	s_mov_b32 s20, s10
	;; [unrolled: 1-line block ×3, first 2 shown]
	s_waitcnt vmcnt(2)
	v_pk_mul_f32 v[14:15], v[54:55], v[136:137] op_sel:[0,1]
	s_nop 0
	v_pk_fma_f32 v[16:17], v[54:55], v[136:137], v[14:15] op_sel:[0,0,1] op_sel_hi:[1,1,0] neg_lo:[0,0,1] neg_hi:[0,0,1]
	v_pk_fma_f32 v[202:203], v[54:55], v[136:137], v[14:15] op_sel:[0,0,1] op_sel_hi:[1,0,0]
	ds_read2st64_b64 v[52:55], v96 offset0:40 offset1:42
	global_load_dwordx2 v[128:129], v[48:49], off offset:3504
	global_load_dwordx2 v[102:103], v[46:47], off offset:1456
	;; [unrolled: 1-line block ×6, first 2 shown]
	s_waitcnt vmcnt(7) lgkmcnt(0)
	v_pk_mul_f32 v[56:57], v[52:53], v[132:133] op_sel:[0,1]
	v_mov_b32_e32 v17, v203
	v_pk_fma_f32 v[112:113], v[52:53], v[132:133], v[56:57] op_sel:[0,0,1] op_sel_hi:[1,1,0] neg_lo:[0,0,1] neg_hi:[0,0,1]
	v_pk_fma_f32 v[120:121], v[52:53], v[132:133], v[56:57] op_sel:[0,0,1] op_sel_hi:[1,0,0]
	s_waitcnt vmcnt(4)
	v_pk_mul_f32 v[48:49], v[54:55], v[102:103] op_sel:[0,1]
	s_nop 0
	v_pk_fma_f32 v[122:123], v[54:55], v[102:103], v[48:49] op_sel:[0,0,1] op_sel_hi:[1,1,0] neg_lo:[0,0,1] neg_hi:[0,0,1]
	v_pk_fma_f32 v[48:49], v[54:55], v[102:103], v[48:49] op_sel:[0,0,1] op_sel_hi:[1,0,0]
	ds_read2st64_b64 v[52:55], v96 offset0:48 offset1:50
	v_mov_b32_e32 v113, v121
	v_mov_b32_e32 v123, v49
	s_waitcnt lgkmcnt(0)
	v_pk_mul_f32 v[56:57], v[52:53], v[184:185] op_sel:[0,1]
	s_nop 0
	v_pk_fma_f32 v[124:125], v[52:53], v[184:185], v[56:57] op_sel:[0,0,1] op_sel_hi:[1,1,0] neg_lo:[0,0,1] neg_hi:[0,0,1]
	v_pk_fma_f32 v[126:127], v[52:53], v[184:185], v[56:57] op_sel:[0,0,1] op_sel_hi:[1,0,0]
	v_pk_mul_f32 v[52:53], v[54:55], v[178:179] op_sel:[0,1]
	v_mov_b32_e32 v125, v127
	v_pk_fma_f32 v[130:131], v[54:55], v[178:179], v[52:53] op_sel:[0,0,1] op_sel_hi:[1,1,0] neg_lo:[0,0,1] neg_hi:[0,0,1]
	v_pk_fma_f32 v[134:135], v[54:55], v[178:179], v[52:53] op_sel:[0,0,1] op_sel_hi:[1,0,0]
	ds_read2st64_b64 v[52:55], v96 offset0:52 offset1:54
	v_mov_b32_e32 v131, v135
	s_waitcnt vmcnt(2) lgkmcnt(0)
	v_pk_mul_f32 v[0:1], v[52:53], v[104:105] op_sel:[0,1]
	s_nop 0
	v_pk_fma_f32 v[138:139], v[52:53], v[104:105], v[0:1] op_sel:[0,0,1] op_sel_hi:[1,1,0] neg_lo:[0,0,1] neg_hi:[0,0,1]
	v_pk_fma_f32 v[6:7], v[52:53], v[104:105], v[0:1] op_sel:[0,0,1] op_sel_hi:[1,0,0]
	v_pk_mul_f32 v[52:53], v[54:55], v[170:171] op_sel:[0,1]
	v_mov_b32_e32 v139, v7
	v_pk_fma_f32 v[140:141], v[54:55], v[170:171], v[52:53] op_sel:[0,0,1] op_sel_hi:[1,1,0] neg_lo:[0,0,1] neg_hi:[0,0,1]
	v_pk_fma_f32 v[146:147], v[54:55], v[170:171], v[52:53] op_sel:[0,0,1] op_sel_hi:[1,0,0]
	ds_read2st64_b64 v[52:55], v96 offset0:56 offset1:58
	v_mov_b32_e32 v141, v147
	s_waitcnt vmcnt(0) lgkmcnt(0)
	v_pk_mul_f32 v[56:57], v[52:53], v[198:199] op_sel:[0,1]
	s_nop 0
	v_pk_fma_f32 v[156:157], v[52:53], v[198:199], v[56:57] op_sel:[0,0,1] op_sel_hi:[1,1,0] neg_lo:[0,0,1] neg_hi:[0,0,1]
	v_pk_fma_f32 v[10:11], v[52:53], v[198:199], v[56:57] op_sel:[0,0,1] op_sel_hi:[1,0,0]
	v_pk_mul_f32 v[52:53], v[54:55], v[114:115] op_sel:[0,1]
	v_mov_b32_e32 v157, v11
	v_pk_fma_f32 v[0:1], v[54:55], v[114:115], v[52:53] op_sel:[0,0,1] op_sel_hi:[1,1,0] neg_lo:[0,0,1] neg_hi:[0,0,1]
	v_pk_fma_f32 v[14:15], v[54:55], v[114:115], v[52:53] op_sel:[0,0,1] op_sel_hi:[1,0,0]
	ds_read2st64_b64 v[52:55], v96 offset0:44 offset1:46
	v_mov_b32_e32 v1, 0x780
	v_cndmask_b32_e32 v1, 0, v1, vcc
	v_add_lshl_u32 v203, v1, v18, 3
	v_mov_b32_e32 v1, v15
	s_waitcnt lgkmcnt(0)
	v_pk_mul_f32 v[24:25], v[54:55], v[220:221] op_sel:[0,1]
	s_nop 0
	v_pk_fma_f32 v[44:45], v[54:55], v[220:221], v[24:25] op_sel:[0,0,1] op_sel_hi:[1,1,0] neg_lo:[0,0,1] neg_hi:[0,0,1]
	v_pk_fma_f32 v[24:25], v[54:55], v[220:221], v[24:25] op_sel:[0,0,1] op_sel_hi:[1,0,0]
	v_pk_mul_f32 v[54:55], v[52:53], v[128:129] op_sel:[0,1]
	v_mov_b32_e32 v45, v25
	v_pk_fma_f32 v[4:5], v[52:53], v[128:129], v[54:55] op_sel:[0,0,1] op_sel_hi:[1,1,0] neg_lo:[0,0,1] neg_hi:[0,0,1]
	v_pk_fma_f32 v[2:3], v[52:53], v[128:129], v[54:55] op_sel:[0,0,1] op_sel_hi:[1,0,0]
	ds_read2st64_b64 v[52:55], v96 offset0:28 offset1:30
	v_mov_b32_e32 v5, v3
	s_waitcnt lgkmcnt(0)
	v_pk_mul_f32 v[56:57], v[54:55], v[110:111] op_sel:[0,1]
	s_nop 0
	v_pk_fma_f32 v[62:63], v[54:55], v[110:111], v[56:57] op_sel:[0,0,1] op_sel_hi:[1,1,0] neg_lo:[0,0,1] neg_hi:[0,0,1]
	v_pk_fma_f32 v[54:55], v[54:55], v[110:111], v[56:57] op_sel:[0,0,1] op_sel_hi:[1,0,0]
	v_pk_add_f32 v[0:1], v[52:53], v[0:1] neg_lo:[0,1] neg_hi:[0,1]
	v_mov_b32_e32 v63, v55
	ds_read2st64_b64 v[54:57], v96 offset1:2
	s_waitcnt lgkmcnt(0)
	v_pk_add_f32 v[222:223], v[54:55], v[62:63] neg_lo:[0,1] neg_hi:[0,1]
	v_pk_add_f32 v[224:225], v[56:57], v[60:61] neg_lo:[0,1] neg_hi:[0,1]
	v_pk_fma_f32 v[226:227], v[54:55], 2.0, v[222:223] op_sel_hi:[1,0,1] neg_lo:[0,0,1] neg_hi:[0,0,1]
	v_pk_fma_f32 v[228:229], v[56:57], 2.0, v[224:225] op_sel_hi:[1,0,1] neg_lo:[0,0,1] neg_hi:[0,0,1]
	ds_read2st64_b64 v[54:57], v96 offset0:4 offset1:6
	ds_read2st64_b64 v[58:61], v96 offset0:8 offset1:10
	ds_read2st64_b64 v[62:65], v96 offset0:12 offset1:14
	ds_read2st64_b64 v[92:95], v96 offset0:16 offset1:18
	ds_read2st64_b64 v[106:109], v96 offset0:20 offset1:22
	ds_read2st64_b64 v[116:119], v96 offset0:24 offset1:26
	s_waitcnt lgkmcnt(5)
	v_pk_add_f32 v[8:9], v[54:55], v[8:9] neg_lo:[0,1] neg_hi:[0,1]
	v_pk_add_f32 v[12:13], v[56:57], v[12:13] neg_lo:[0,1] neg_hi:[0,1]
	s_waitcnt lgkmcnt(0)
	s_barrier
	ds_write2st64_b64 v96, v[224:225], v[8:9] offset0:17 offset1:19
	v_pk_fma_f32 v[8:9], v[54:55], 2.0, v[8:9] op_sel_hi:[1,0,1] neg_lo:[0,0,1] neg_hi:[0,0,1]
	v_pk_fma_f32 v[20:21], v[56:57], 2.0, v[12:13] op_sel_hi:[1,0,1] neg_lo:[0,0,1] neg_hi:[0,0,1]
	ds_write2st64_b64 v96, v[8:9], v[20:21] offset0:4 offset1:6
	v_pk_add_f32 v[8:9], v[58:59], v[16:17] neg_lo:[0,1] neg_hi:[0,1]
	ds_write2st64_b64 v96, v[12:13], v[8:9] offset0:21 offset1:23
	v_pk_add_f32 v[12:13], v[60:61], v[112:113] neg_lo:[0,1] neg_hi:[0,1]
	v_pk_fma_f32 v[8:9], v[58:59], 2.0, v[8:9] op_sel_hi:[1,0,1] neg_lo:[0,0,1] neg_hi:[0,0,1]
	v_pk_fma_f32 v[16:17], v[60:61], 2.0, v[12:13] op_sel_hi:[1,0,1] neg_lo:[0,0,1] neg_hi:[0,0,1]
	ds_write2st64_b64 v96, v[8:9], v[16:17] offset0:8 offset1:10
	v_pk_add_f32 v[8:9], v[62:63], v[122:123] neg_lo:[0,1] neg_hi:[0,1]
	v_pk_add_f32 v[2:3], v[64:65], v[4:5] neg_lo:[0,1] neg_hi:[0,1]
	v_pk_fma_f32 v[16:17], v[62:63], 2.0, v[8:9] op_sel_hi:[1,0,1] neg_lo:[0,0,1] neg_hi:[0,0,1]
	v_pk_fma_f32 v[4:5], v[64:65], 2.0, v[2:3] op_sel_hi:[1,0,1] neg_lo:[0,0,1] neg_hi:[0,0,1]
	ds_write2st64_b64 v96, v[226:227], v[228:229] offset1:2
	ds_write2st64_b64 v96, v[16:17], v[222:223] offset0:12 offset1:15
	ds_write2st64_b64 v96, v[12:13], v[8:9] offset0:25 offset1:27
	ds_write2st64_b64 v203, v[4:5], v[2:3] offset1:15
	v_pk_add_f32 v[2:3], v[92:93], v[44:45] neg_lo:[0,1] neg_hi:[0,1]
	v_pk_add_f32 v[4:5], v[94:95], v[124:125] neg_lo:[0,1] neg_hi:[0,1]
	;; [unrolled: 1-line block ×3, first 2 shown]
	v_pk_fma_f32 v[8:9], v[92:93], 2.0, v[2:3] op_sel_hi:[1,0,1] neg_lo:[0,0,1] neg_hi:[0,0,1]
	v_pk_fma_f32 v[12:13], v[94:95], 2.0, v[4:5] op_sel_hi:[1,0,1] neg_lo:[0,0,1] neg_hi:[0,0,1]
	ds_write2st64_b64 v96, v[4:5], v[6:7] offset0:48 offset1:50
	v_pk_fma_f32 v[4:5], v[106:107], 2.0, v[6:7] op_sel_hi:[1,0,1] neg_lo:[0,0,1] neg_hi:[0,0,1]
	v_pk_add_f32 v[6:7], v[108:109], v[138:139] neg_lo:[0,1] neg_hi:[0,1]
	ds_write2st64_b64 v96, v[8:9], v[12:13] offset0:31 offset1:33
	v_pk_fma_f32 v[8:9], v[108:109], 2.0, v[6:7] op_sel_hi:[1,0,1] neg_lo:[0,0,1] neg_hi:[0,0,1]
	ds_write2st64_b64 v96, v[4:5], v[8:9] offset0:35 offset1:37
	v_pk_add_f32 v[4:5], v[116:117], v[140:141] neg_lo:[0,1] neg_hi:[0,1]
	ds_write2st64_b64 v96, v[6:7], v[4:5] offset0:52 offset1:54
	v_pk_add_f32 v[6:7], v[118:119], v[156:157] neg_lo:[0,1] neg_hi:[0,1]
	v_pk_fma_f32 v[4:5], v[116:117], 2.0, v[4:5] op_sel_hi:[1,0,1] neg_lo:[0,0,1] neg_hi:[0,0,1]
	v_pk_fma_f32 v[8:9], v[118:119], 2.0, v[6:7] op_sel_hi:[1,0,1] neg_lo:[0,0,1] neg_hi:[0,0,1]
	ds_write2st64_b64 v96, v[4:5], v[8:9] offset0:39 offset1:41
	v_pk_fma_f32 v[4:5], v[52:53], 2.0, v[0:1] op_sel_hi:[1,0,1] neg_lo:[0,0,1] neg_hi:[0,0,1]
	ds_write2st64_b64 v96, v[4:5], v[2:3] offset0:43 offset1:46
	ds_write2st64_b64 v96, v[6:7], v[0:1] offset0:56 offset1:58
	s_waitcnt lgkmcnt(0)
	s_barrier
	global_load_dwordx2 v[138:139], v[46:47], off offset:2992
	global_load_dwordx2 v[140:141], v[46:47], off offset:4016
	v_add_co_u32_e32 v0, vcc, s8, v42
	s_movk_i32 s8, 0x5000
	s_nop 0
	v_addc_co_u32_e32 v1, vcc, 0, v43, vcc
	global_load_dwordx2 v[146:147], v[0:1], off offset:944
	global_load_dwordx2 v[156:157], v[0:1], off offset:1968
	ds_read2st64_b64 v[44:47], v96 offset0:28 offset1:30
	ds_read2st64_b64 v[50:53], v96 offset1:2
	s_waitcnt vmcnt(3) lgkmcnt(1)
	v_pk_mul_f32 v[2:3], v[46:47], v[138:139] op_sel:[0,1]
	s_nop 0
	v_pk_fma_f32 v[4:5], v[46:47], v[138:139], v[2:3] op_sel:[0,0,1] op_sel_hi:[1,1,0] neg_lo:[0,0,1] neg_hi:[0,0,1]
	v_pk_fma_f32 v[2:3], v[46:47], v[138:139], v[2:3] op_sel:[0,0,1] op_sel_hi:[1,0,0]
	ds_read2st64_b64 v[46:49], v96 offset0:32 offset1:34
	v_mov_b32_e32 v5, v3
	s_waitcnt vmcnt(2) lgkmcnt(0)
	v_pk_mul_f32 v[2:3], v[46:47], v[140:141] op_sel:[0,1]
	s_nop 0
	v_pk_fma_f32 v[6:7], v[46:47], v[140:141], v[2:3] op_sel:[0,0,1] op_sel_hi:[1,1,0] neg_lo:[0,0,1] neg_hi:[0,0,1]
	v_pk_fma_f32 v[2:3], v[46:47], v[140:141], v[2:3] op_sel:[0,0,1] op_sel_hi:[1,0,0]
	s_nop 0
	v_mov_b32_e32 v7, v3
	v_pk_add_f32 v[2:3], v[50:51], v[4:5] neg_lo:[0,1] neg_hi:[0,1]
	v_pk_add_f32 v[4:5], v[52:53], v[6:7] neg_lo:[0,1] neg_hi:[0,1]
	v_pk_fma_f32 v[6:7], v[50:51], 2.0, v[2:3] op_sel_hi:[1,0,1] neg_lo:[0,0,1] neg_hi:[0,0,1]
	v_pk_fma_f32 v[8:9], v[52:53], 2.0, v[4:5] op_sel_hi:[1,0,1] neg_lo:[0,0,1] neg_hi:[0,0,1]
	ds_write2st64_b64 v96, v[6:7], v[8:9] offset1:2
	s_waitcnt vmcnt(1)
	v_pk_mul_f32 v[6:7], v[48:49], v[146:147] op_sel:[0,1]
	ds_read2st64_b64 v[50:53], v96 offset0:36 offset1:38
	v_pk_fma_f32 v[8:9], v[48:49], v[146:147], v[6:7] op_sel:[0,0,1] op_sel_hi:[1,1,0] neg_lo:[0,0,1] neg_hi:[0,0,1]
	v_pk_fma_f32 v[6:7], v[48:49], v[146:147], v[6:7] op_sel:[0,0,1] op_sel_hi:[1,0,0]
	ds_read2st64_b64 v[46:49], v96 offset0:4 offset1:6
	v_mov_b32_e32 v9, v7
	s_waitcnt lgkmcnt(0)
	v_pk_add_f32 v[6:7], v[46:47], v[8:9] neg_lo:[0,1] neg_hi:[0,1]
	ds_write2st64_b64 v96, v[4:5], v[6:7] offset0:32 offset1:34
	s_waitcnt vmcnt(0)
	v_pk_mul_f32 v[4:5], v[50:51], v[156:157] op_sel:[0,1]
	s_nop 0
	v_pk_fma_f32 v[8:9], v[50:51], v[156:157], v[4:5] op_sel:[0,0,1] op_sel_hi:[1,1,0] neg_lo:[0,0,1] neg_hi:[0,0,1]
	v_pk_fma_f32 v[4:5], v[50:51], v[156:157], v[4:5] op_sel:[0,0,1] op_sel_hi:[1,0,0]
	s_nop 0
	v_mov_b32_e32 v9, v5
	v_pk_fma_f32 v[4:5], v[46:47], 2.0, v[6:7] op_sel_hi:[1,0,1] neg_lo:[0,0,1] neg_hi:[0,0,1]
	v_pk_add_f32 v[6:7], v[48:49], v[8:9] neg_lo:[0,1] neg_hi:[0,1]
	s_nop 0
	v_pk_fma_f32 v[8:9], v[48:49], 2.0, v[6:7] op_sel_hi:[1,0,1] neg_lo:[0,0,1] neg_hi:[0,0,1]
	ds_write2st64_b64 v96, v[4:5], v[8:9] offset0:4 offset1:6
	global_load_dwordx2 v[118:119], v[0:1], off offset:2992
	global_load_dwordx2 v[124:125], v[0:1], off offset:4016
	v_add_co_u32_e32 v0, vcc, s8, v42
	s_movk_i32 s8, 0x6000
	s_nop 0
	v_addc_co_u32_e32 v1, vcc, 0, v43, vcc
	global_load_dwordx2 v[130:131], v[0:1], off offset:944
	global_load_dwordx2 v[134:135], v[0:1], off offset:1968
	ds_read2st64_b64 v[46:49], v96 offset0:8 offset1:10
	s_waitcnt vmcnt(3)
	v_pk_mul_f32 v[4:5], v[52:53], v[118:119] op_sel:[0,1]
	s_nop 0
	v_pk_fma_f32 v[8:9], v[52:53], v[118:119], v[4:5] op_sel:[0,0,1] op_sel_hi:[1,1,0] neg_lo:[0,0,1] neg_hi:[0,0,1]
	v_pk_fma_f32 v[4:5], v[52:53], v[118:119], v[4:5] op_sel:[0,0,1] op_sel_hi:[1,0,0]
	ds_read2st64_b64 v[50:53], v96 offset0:40 offset1:42
	v_mov_b32_e32 v9, v5
	s_waitcnt lgkmcnt(1)
	v_pk_add_f32 v[4:5], v[46:47], v[8:9] neg_lo:[0,1] neg_hi:[0,1]
	ds_write2st64_b64 v96, v[6:7], v[4:5] offset0:36 offset1:38
	v_pk_fma_f32 v[4:5], v[46:47], 2.0, v[4:5] op_sel_hi:[1,0,1] neg_lo:[0,0,1] neg_hi:[0,0,1]
	s_waitcnt vmcnt(2) lgkmcnt(1)
	v_pk_mul_f32 v[6:7], v[50:51], v[124:125] op_sel:[0,1]
	s_nop 0
	v_pk_fma_f32 v[8:9], v[50:51], v[124:125], v[6:7] op_sel:[0,0,1] op_sel_hi:[1,1,0] neg_lo:[0,0,1] neg_hi:[0,0,1]
	v_pk_fma_f32 v[6:7], v[50:51], v[124:125], v[6:7] op_sel:[0,0,1] op_sel_hi:[1,0,0]
	s_nop 0
	v_mov_b32_e32 v9, v7
	v_pk_add_f32 v[6:7], v[48:49], v[8:9] neg_lo:[0,1] neg_hi:[0,1]
	s_nop 0
	v_pk_fma_f32 v[8:9], v[48:49], 2.0, v[6:7] op_sel_hi:[1,0,1] neg_lo:[0,0,1] neg_hi:[0,0,1]
	ds_write2st64_b64 v96, v[4:5], v[8:9] offset0:8 offset1:10
	s_waitcnt vmcnt(1)
	v_pk_mul_f32 v[4:5], v[52:53], v[130:131] op_sel:[0,1]
	ds_read2st64_b64 v[46:49], v96 offset0:12 offset1:14
	v_pk_fma_f32 v[8:9], v[52:53], v[130:131], v[4:5] op_sel:[0,0,1] op_sel_hi:[1,1,0] neg_lo:[0,0,1] neg_hi:[0,0,1]
	v_pk_fma_f32 v[4:5], v[52:53], v[130:131], v[4:5] op_sel:[0,0,1] op_sel_hi:[1,0,0]
	ds_read2st64_b64 v[50:53], v96 offset0:44 offset1:46
	v_mov_b32_e32 v9, v5
	s_waitcnt lgkmcnt(1)
	v_pk_add_f32 v[4:5], v[46:47], v[8:9] neg_lo:[0,1] neg_hi:[0,1]
	ds_write2st64_b64 v96, v[6:7], v[4:5] offset0:40 offset1:42
	v_pk_fma_f32 v[4:5], v[46:47], 2.0, v[4:5] op_sel_hi:[1,0,1] neg_lo:[0,0,1] neg_hi:[0,0,1]
	s_waitcnt vmcnt(0) lgkmcnt(1)
	v_pk_mul_f32 v[6:7], v[50:51], v[134:135] op_sel:[0,1]
	s_nop 0
	v_pk_fma_f32 v[8:9], v[50:51], v[134:135], v[6:7] op_sel:[0,0,1] op_sel_hi:[1,1,0] neg_lo:[0,0,1] neg_hi:[0,0,1]
	v_pk_fma_f32 v[6:7], v[50:51], v[134:135], v[6:7] op_sel:[0,0,1] op_sel_hi:[1,0,0]
	s_nop 0
	v_mov_b32_e32 v9, v7
	v_pk_add_f32 v[6:7], v[48:49], v[8:9] neg_lo:[0,1] neg_hi:[0,1]
	s_nop 0
	v_pk_fma_f32 v[8:9], v[48:49], 2.0, v[6:7] op_sel_hi:[1,0,1] neg_lo:[0,0,1] neg_hi:[0,0,1]
	ds_write2st64_b64 v96, v[4:5], v[8:9] offset0:12 offset1:14
	global_load_dwordx2 v[108:109], v[0:1], off offset:2992
	global_load_dwordx2 v[116:117], v[0:1], off offset:4016
	v_add_co_u32_e32 v0, vcc, s8, v42
	s_movk_i32 s8, 0x7000
	s_nop 0
	v_addc_co_u32_e32 v1, vcc, 0, v43, vcc
	global_load_dwordx2 v[120:121], v[0:1], off offset:944
	global_load_dwordx2 v[126:127], v[0:1], off offset:1968
	ds_read2st64_b64 v[46:49], v96 offset0:16 offset1:18
	s_waitcnt vmcnt(3)
	v_pk_mul_f32 v[4:5], v[52:53], v[108:109] op_sel:[0,1]
	s_nop 0
	v_pk_fma_f32 v[8:9], v[52:53], v[108:109], v[4:5] op_sel:[0,0,1] op_sel_hi:[1,1,0] neg_lo:[0,0,1] neg_hi:[0,0,1]
	v_pk_fma_f32 v[4:5], v[52:53], v[108:109], v[4:5] op_sel:[0,0,1] op_sel_hi:[1,0,0]
	ds_read2st64_b64 v[50:53], v96 offset0:48 offset1:50
	v_mov_b32_e32 v9, v5
	s_waitcnt lgkmcnt(1)
	v_pk_add_f32 v[4:5], v[46:47], v[8:9] neg_lo:[0,1] neg_hi:[0,1]
	ds_write2st64_b64 v96, v[6:7], v[4:5] offset0:44 offset1:46
	v_pk_fma_f32 v[4:5], v[46:47], 2.0, v[4:5] op_sel_hi:[1,0,1] neg_lo:[0,0,1] neg_hi:[0,0,1]
	s_waitcnt vmcnt(2) lgkmcnt(1)
	v_pk_mul_f32 v[6:7], v[50:51], v[116:117] op_sel:[0,1]
	s_waitcnt vmcnt(1)
	v_pk_mul_f32 v[20:21], v[52:53], v[120:121] op_sel:[0,1]
	v_pk_fma_f32 v[8:9], v[50:51], v[116:117], v[6:7] op_sel:[0,0,1] op_sel_hi:[1,1,0] neg_lo:[0,0,1] neg_hi:[0,0,1]
	v_pk_fma_f32 v[6:7], v[50:51], v[116:117], v[6:7] op_sel:[0,0,1] op_sel_hi:[1,0,0]
	v_pk_fma_f32 v[22:23], v[52:53], v[120:121], v[20:21] op_sel:[0,0,1] op_sel_hi:[1,1,0] neg_lo:[0,0,1] neg_hi:[0,0,1]
	v_mov_b32_e32 v9, v7
	v_pk_add_f32 v[6:7], v[48:49], v[8:9] neg_lo:[0,1] neg_hi:[0,1]
	v_pk_fma_f32 v[20:21], v[52:53], v[120:121], v[20:21] op_sel:[0,0,1] op_sel_hi:[1,0,0]
	v_pk_fma_f32 v[8:9], v[48:49], 2.0, v[6:7] op_sel_hi:[1,0,1] neg_lo:[0,0,1] neg_hi:[0,0,1]
	ds_write2st64_b64 v96, v[4:5], v[8:9] offset0:16 offset1:18
	v_add_co_u32_e32 v4, vcc, s8, v42
	v_mov_b32_e32 v23, v21
	s_nop 0
	v_addc_co_u32_e32 v5, vcc, 0, v43, vcc
	global_load_dwordx2 v[122:123], v[4:5], off offset:944
	global_load_dwordx2 v[112:113], v[0:1], off offset:4016
	;; [unrolled: 1-line block ×3, first 2 shown]
	ds_read2st64_b64 v[46:49], v96 offset0:56 offset1:58
	s_mov_b32 s8, 0x3e9e377a
	s_mov_b32 s15, s8
	s_waitcnt vmcnt(2) lgkmcnt(0)
	v_pk_mul_f32 v[0:1], v[48:49], v[122:123] op_sel:[0,1]
	s_waitcnt vmcnt(1)
	v_pk_mul_f32 v[8:9], v[46:47], v[112:113] op_sel:[0,1]
	v_pk_fma_f32 v[4:5], v[48:49], v[122:123], v[0:1] op_sel:[0,0,1] op_sel_hi:[1,1,0] neg_lo:[0,0,1] neg_hi:[0,0,1]
	v_pk_fma_f32 v[0:1], v[48:49], v[122:123], v[0:1] op_sel:[0,0,1] op_sel_hi:[1,0,0]
	v_pk_fma_f32 v[10:11], v[46:47], v[112:113], v[8:9] op_sel:[0,0,1] op_sel_hi:[1,1,0] neg_lo:[0,0,1] neg_hi:[0,0,1]
	v_pk_fma_f32 v[8:9], v[46:47], v[112:113], v[8:9] op_sel:[0,0,1] op_sel_hi:[1,0,0]
	ds_read2st64_b64 v[46:49], v96 offset0:52 offset1:54
	v_mov_b32_e32 v11, v9
	v_mov_b32_e32 v5, v1
	v_pk_add_f32 v[0:1], v[44:45], v[4:5] neg_lo:[0,1] neg_hi:[0,1]
	s_waitcnt vmcnt(0) lgkmcnt(0)
	v_pk_mul_f32 v[12:13], v[48:49], v[106:107] op_sel:[0,1]
	v_pk_mul_f32 v[16:17], v[46:47], v[126:127] op_sel:[0,1]
	v_pk_fma_f32 v[14:15], v[48:49], v[106:107], v[12:13] op_sel:[0,0,1] op_sel_hi:[1,1,0] neg_lo:[0,0,1] neg_hi:[0,0,1]
	v_pk_fma_f32 v[12:13], v[48:49], v[106:107], v[12:13] op_sel:[0,0,1] op_sel_hi:[1,0,0]
	v_pk_fma_f32 v[18:19], v[46:47], v[126:127], v[16:17] op_sel:[0,0,1] op_sel_hi:[1,1,0] neg_lo:[0,0,1] neg_hi:[0,0,1]
	v_pk_fma_f32 v[16:17], v[46:47], v[126:127], v[16:17] op_sel:[0,0,1] op_sel_hi:[1,0,0]
	ds_read2st64_b64 v[46:49], v96 offset0:20 offset1:22
	v_mov_b32_e32 v19, v17
	v_mov_b32_e32 v15, v13
	v_pk_fma_f32 v[4:5], v[44:45], 2.0, v[0:1] op_sel_hi:[1,0,1] neg_lo:[0,0,1] neg_hi:[0,0,1]
	s_waitcnt lgkmcnt(0)
	v_pk_add_f32 v[16:17], v[46:47], v[22:23] neg_lo:[0,1] neg_hi:[0,1]
	ds_write2st64_b64 v96, v[6:7], v[16:17] offset0:48 offset1:50
	v_pk_add_f32 v[6:7], v[48:49], v[18:19] neg_lo:[0,1] neg_hi:[0,1]
	v_pk_fma_f32 v[16:17], v[46:47], 2.0, v[16:17] op_sel_hi:[1,0,1] neg_lo:[0,0,1] neg_hi:[0,0,1]
	v_pk_fma_f32 v[18:19], v[48:49], 2.0, v[6:7] op_sel_hi:[1,0,1] neg_lo:[0,0,1] neg_hi:[0,0,1]
	ds_read2st64_b64 v[46:49], v96 offset0:24 offset1:26
	ds_write2st64_b64 v96, v[16:17], v[18:19] offset0:20 offset1:22
	s_waitcnt lgkmcnt(1)
	v_pk_add_f32 v[8:9], v[46:47], v[14:15] neg_lo:[0,1] neg_hi:[0,1]
	ds_write2st64_b64 v96, v[6:7], v[8:9] offset0:52 offset1:54
	v_pk_add_f32 v[6:7], v[48:49], v[10:11] neg_lo:[0,1] neg_hi:[0,1]
	v_pk_fma_f32 v[8:9], v[46:47], 2.0, v[8:9] op_sel_hi:[1,0,1] neg_lo:[0,0,1] neg_hi:[0,0,1]
	v_pk_fma_f32 v[10:11], v[48:49], 2.0, v[6:7] op_sel_hi:[1,0,1] neg_lo:[0,0,1] neg_hi:[0,0,1]
	ds_write2st64_b64 v96, v[8:9], v[10:11] offset0:24 offset1:26
	ds_write2st64_b64 v96, v[4:5], v[2:3] offset0:28 offset1:30
	;; [unrolled: 1-line block ×3, first 2 shown]
	s_waitcnt lgkmcnt(0)
	s_barrier
	global_load_dwordx2 v[0:1], v96, s[2:3]
	ds_read2st64_b64 v[44:47], v96 offset1:2
	s_waitcnt vmcnt(0) lgkmcnt(0)
	v_mul_f32_e32 v2, v45, v1
	v_mul_f32_e32 v43, v44, v1
	v_fma_f32 v42, v44, v0, -v2
	v_fmac_f32_e32 v43, v45, v0
	global_load_dwordx2 v[0:1], v96, s[2:3] offset:1024
	s_waitcnt vmcnt(0)
	v_mul_f32_e32 v2, v47, v1
	v_mul_f32_e32 v45, v46, v1
	v_fma_f32 v44, v46, v0, -v2
	v_fmac_f32_e32 v45, v47, v0
	global_load_dwordx2 v[0:1], v68, s[2:3]
	global_load_dwordx2 v[2:3], v70, s[2:3]
	;; [unrolled: 1-line block ×4, first 2 shown]
	ds_read2st64_b64 v[50:53], v96 offset0:12 offset1:14
	s_waitcnt vmcnt(3) lgkmcnt(0)
	v_mul_f32_e32 v6, v51, v1
	v_mul_f32_e32 v47, v50, v1
	v_fma_f32 v46, v50, v0, -v6
	v_fmac_f32_e32 v47, v51, v0
	global_load_dwordx2 v[0:1], v76, s[2:3]
	global_load_dwordx2 v[6:7], v91, s[2:3]
	;; [unrolled: 1-line block ×3, first 2 shown]
	s_waitcnt vmcnt(2)
	v_mul_f32_e32 v10, v53, v1
	v_mul_f32_e32 v11, v52, v1
	v_fma_f32 v10, v52, v0, -v10
	v_fmac_f32_e32 v11, v53, v0
	ds_read2st64_b64 v[50:53], v96 offset0:24 offset1:26
	s_waitcnt lgkmcnt(0)
	v_mul_f32_e32 v0, v51, v5
	v_mul_f32_e32 v1, v50, v5
	v_fma_f32 v0, v50, v4, -v0
	v_fmac_f32_e32 v1, v51, v4
	global_load_dwordx2 v[4:5], v88, s[2:3]
	s_waitcnt vmcnt(0)
	v_mul_f32_e32 v12, v53, v5
	v_mul_f32_e32 v13, v52, v5
	v_fma_f32 v12, v52, v4, -v12
	v_fmac_f32_e32 v13, v53, v4
	global_load_dwordx2 v[4:5], v66, s[2:3]
	global_load_dwordx2 v[14:15], v67, s[2:3]
	;; [unrolled: 1-line block ×4, first 2 shown]
	ds_read2st64_b64 v[50:53], v96 offset0:36 offset1:38
	s_waitcnt vmcnt(3) lgkmcnt(0)
	v_mul_f32_e32 v20, v51, v5
	v_mul_f32_e32 v21, v50, v5
	v_fma_f32 v20, v50, v4, -v20
	v_fmac_f32_e32 v21, v51, v4
	global_load_dwordx2 v[4:5], v89, s[2:3]
	global_load_dwordx2 v[22:23], v90, s[2:3]
	global_load_dwordx2 v[24:25], v79, s[2:3]
	s_waitcnt vmcnt(2)
	v_mul_f32_e32 v50, v53, v5
	v_mul_f32_e32 v55, v52, v5
	v_fma_f32 v54, v52, v4, -v50
	v_fmac_f32_e32 v55, v53, v4
	ds_read2st64_b64 v[50:53], v96 offset0:48 offset1:50
	s_waitcnt lgkmcnt(0)
	v_mul_f32_e32 v4, v51, v17
	v_mul_f32_e32 v5, v50, v17
	v_fma_f32 v4, v50, v16, -v4
	v_fmac_f32_e32 v5, v51, v16
	global_load_dwordx2 v[16:17], v80, s[2:3]
	s_waitcnt vmcnt(0)
	v_mul_f32_e32 v50, v53, v17
	v_mul_f32_e32 v57, v52, v17
	v_fma_f32 v56, v52, v16, -v50
	v_fmac_f32_e32 v57, v53, v16
	global_load_dwordx2 v[16:17], v96, s[2:3] offset:3072
	global_load_dwordx2 v[58:59], v96, s[2:3] offset:2048
	ds_read2st64_b64 v[50:53], v96 offset0:4 offset1:6
	s_waitcnt vmcnt(1) lgkmcnt(0)
	v_mul_f32_e32 v60, v53, v17
	v_mul_f32_e32 v61, v52, v17
	v_fma_f32 v60, v52, v16, -v60
	v_fmac_f32_e32 v61, v53, v16
	s_waitcnt vmcnt(0)
	v_mul_f32_e32 v16, v51, v59
	v_mul_f32_e32 v17, v50, v59
	v_fma_f32 v16, v50, v58, -v16
	v_fmac_f32_e32 v17, v51, v58
	ds_read2st64_b64 v[50:53], v96 offset0:8 offset1:10
	s_waitcnt lgkmcnt(0)
	v_mul_f32_e32 v58, v51, v9
	v_mul_f32_e32 v59, v50, v9
	v_fma_f32 v58, v50, v8, -v58
	v_fmac_f32_e32 v59, v51, v8
	global_load_dwordx2 v[8:9], v81, s[2:3]
	global_load_dwordx2 v[62:63], v85, s[2:3]
	;; [unrolled: 1-line block ×4, first 2 shown]
	s_waitcnt vmcnt(3)
	v_mul_f32_e32 v50, v53, v9
	v_mul_f32_e32 v69, v52, v9
	v_fma_f32 v68, v52, v8, -v50
	v_fmac_f32_e32 v69, v53, v8
	ds_read2st64_b64 v[50:53], v96 offset0:16 offset1:18
	s_waitcnt lgkmcnt(0)
	v_mul_f32_e32 v8, v53, v3
	v_mul_f32_e32 v9, v52, v3
	v_fma_f32 v8, v52, v2, -v8
	v_fmac_f32_e32 v9, v53, v2
	s_waitcnt vmcnt(2)
	v_mul_f32_e32 v2, v51, v63
	v_mul_f32_e32 v3, v50, v63
	v_fma_f32 v2, v50, v62, -v2
	v_fmac_f32_e32 v3, v51, v62
	ds_read2st64_b64 v[50:53], v96 offset0:20 offset1:22
	s_waitcnt lgkmcnt(0)
	v_mul_f32_e32 v62, v51, v7
	v_mul_f32_e32 v63, v50, v7
	v_fma_f32 v62, v50, v6, -v62
	v_fmac_f32_e32 v63, v51, v6
	;; [unrolled: 11-line block ×3, first 2 shown]
	global_load_dwordx2 v[48:49], v77, s[2:3]
	global_load_dwordx2 v[52:53], v78, s[2:3]
	;; [unrolled: 1-line block ×4, first 2 shown]
	s_waitcnt vmcnt(3)
	v_mul_f32_e32 v74, v51, v49
	v_mul_f32_e32 v75, v50, v49
	v_fma_f32 v74, v50, v48, -v74
	v_fmac_f32_e32 v75, v51, v48
	ds_read2st64_b64 v[48:51], v96 offset0:32 offset1:34
	s_waitcnt lgkmcnt(0)
	v_mul_f32_e32 v76, v49, v25
	v_mul_f32_e32 v77, v48, v25
	v_fma_f32 v76, v48, v24, -v76
	v_fmac_f32_e32 v77, v49, v24
	s_waitcnt vmcnt(2)
	v_mul_f32_e32 v24, v51, v53
	v_mul_f32_e32 v25, v50, v53
	v_fma_f32 v24, v50, v52, -v24
	v_fmac_f32_e32 v25, v51, v52
	ds_read2st64_b64 v[48:51], v96 offset0:40 offset1:42
	s_waitcnt lgkmcnt(0)
	v_mul_f32_e32 v52, v51, v15
	v_mul_f32_e32 v53, v50, v15
	v_fma_f32 v52, v50, v14, -v52
	v_fmac_f32_e32 v53, v51, v14
	;; [unrolled: 11-line block ×4, first 2 shown]
	global_load_dwordx2 v[18:19], v82, s[2:3]
	s_waitcnt vmcnt(0)
	v_mul_f32_e32 v50, v49, v19
	v_mul_f32_e32 v79, v48, v19
	v_fma_f32 v78, v48, v18, -v50
	v_fmac_f32_e32 v79, v49, v18
	ds_read2st64_b64 v[48:51], v96 offset0:56 offset1:58
	s_waitcnt lgkmcnt(0)
	v_mul_f32_e32 v18, v49, v67
	v_mul_f32_e32 v19, v48, v67
	v_fma_f32 v18, v48, v66, -v18
	v_fmac_f32_e32 v19, v49, v66
	global_load_dwordx2 v[48:49], v83, s[2:3]
	s_mov_b32 s2, 0x3f737871
	s_mov_b32 s14, s2
	;; [unrolled: 1-line block ×3, first 2 shown]
	s_waitcnt vmcnt(0)
	v_mul_f32_e32 v66, v51, v49
	v_mul_f32_e32 v67, v50, v49
	v_fma_f32 v66, v50, v48, -v66
	v_fmac_f32_e32 v67, v51, v48
	ds_write2st64_b64 v96, v[42:43], v[44:45] offset1:2
	ds_write2st64_b64 v96, v[46:47], v[10:11] offset0:12 offset1:14
	ds_write2st64_b64 v96, v[0:1], v[12:13] offset0:24 offset1:26
	;; [unrolled: 1-line block ×14, first 2 shown]
	s_waitcnt lgkmcnt(0)
	s_barrier
	ds_read2st64_b64 v[42:45], v96 offset0:28 offset1:30
	ds_read2st64_b64 v[46:49], v96 offset0:40 offset1:42
	;; [unrolled: 1-line block ×8, first 2 shown]
	ds_read2st64_b64 v[92:95], v96 offset1:2
	s_waitcnt lgkmcnt(8)
	v_mov_b32_e32 v0, v44
	s_waitcnt lgkmcnt(7)
	v_mov_b32_e32 v1, v48
	;; [unrolled: 2-line block ×4, first 2 shown]
	v_pk_add_f32 v[0:1], v[0:1], v[2:3] neg_lo:[0,1] neg_hi:[0,1]
	v_mov_b32_e32 v2, v45
	v_mov_b32_e32 v3, v49
	;; [unrolled: 1-line block ×4, first 2 shown]
	v_pk_add_f32 v[2:3], v[2:3], v[4:5] neg_lo:[0,1] neg_hi:[0,1]
	s_waitcnt lgkmcnt(3)
	v_pk_add_f32 v[4:5], v[74:75], v[80:81] neg_lo:[0,1] neg_hi:[0,1]
	s_waitcnt lgkmcnt(1)
	v_pk_add_f32 v[6:7], v[88:89], v[84:85] neg_lo:[0,1] neg_hi:[0,1]
	v_pk_add_f32 v[8:9], v[74:75], v[88:89] neg_lo:[0,1] neg_hi:[0,1]
	v_pk_add_f32 v[4:5], v[4:5], v[6:7]
	v_pk_add_f32 v[6:7], v[80:81], v[84:85]
	v_pk_mul_f32 v[10:11], v[8:9], s[2:3] op_sel_hi:[1,0]
	s_waitcnt lgkmcnt(0)
	v_pk_fma_f32 v[6:7], v[6:7], 0.5, v[92:93] op_sel_hi:[1,0,1] neg_lo:[1,0,0] neg_hi:[1,0,0]
	ds_read2st64_b64 v[58:61], v96 offset0:4 offset1:6
	v_pk_add_f32 v[12:13], v[6:7], v[10:11] op_sel:[0,1] op_sel_hi:[1,0] neg_lo:[0,1] neg_hi:[0,1]
	v_pk_add_f32 v[6:7], v[6:7], v[10:11] op_sel:[0,1] op_sel_hi:[1,0]
	v_pk_add_f32 v[10:11], v[80:81], v[84:85] neg_lo:[0,1] neg_hi:[0,1]
	v_pk_add_f32 v[16:17], v[52:53], v[48:49] neg_lo:[0,1] neg_hi:[0,1]
	v_pk_mul_f32 v[14:15], v[10:11], s[10:11] op_sel_hi:[1,0]
	v_pk_add_f32 v[18:19], v[56:57], v[52:53] neg_lo:[0,1] neg_hi:[0,1]
	v_pk_add_f32 v[6:7], v[6:7], v[14:15] op_sel:[0,1] op_sel_hi:[1,0]
	v_pk_add_f32 v[12:13], v[12:13], v[14:15] op_sel:[0,1] op_sel_hi:[1,0] neg_lo:[0,1] neg_hi:[0,1]
	v_pk_add_f32 v[14:15], v[56:57], v[44:45] neg_lo:[0,1] neg_hi:[0,1]
	v_pk_mul_f32 v[20:21], v[18:19], s[2:3] op_sel_hi:[1,0]
	v_pk_add_f32 v[14:15], v[14:15], v[16:17]
	v_pk_add_f32 v[16:17], v[44:45], v[48:49]
	v_add_f32_e32 v66, v0, v1
	s_waitcnt lgkmcnt(0)
	v_pk_fma_f32 v[16:17], v[16:17], 0.5, v[60:61] op_sel_hi:[1,0,1] neg_lo:[1,0,0] neg_hi:[1,0,0]
	v_pk_add_f32 v[0:1], v[56:57], v[52:53]
	v_pk_add_f32 v[22:23], v[16:17], v[20:21] op_sel:[0,1] op_sel_hi:[1,0]
	v_pk_add_f32 v[16:17], v[16:17], v[20:21] op_sel:[0,1] op_sel_hi:[1,0] neg_lo:[0,1] neg_hi:[0,1]
	v_pk_add_f32 v[20:21], v[44:45], v[48:49] neg_lo:[0,1] neg_hi:[0,1]
	s_mov_b32 s3, s10
	v_pk_mul_f32 v[24:25], v[20:21], s[10:11] op_sel_hi:[1,0]
	s_mov_b32 s11, s2
	v_pk_add_f32 v[22:23], v[24:25], v[22:23] op_sel:[1,0] op_sel_hi:[0,1]
	v_pk_add_f32 v[16:17], v[16:17], v[24:25] op_sel:[0,1] op_sel_hi:[1,0] neg_lo:[0,1] neg_hi:[0,1]
	v_pk_fma_f32 v[24:25], v[14:15], s[8:9], v[22:23] op_sel_hi:[1,0,1]
	v_mov_b32_e32 v22, v16
	v_pk_fma_f32 v[22:23], v[14:15], s[8:9], v[22:23] op_sel_hi:[1,0,1]
	v_pk_fma_f32 v[14:15], v[14:15], s[8:9], v[16:17] op_sel_hi:[1,0,1]
	v_mov_b32_e32 v16, v19
	v_mov_b32_e32 v17, v21
	;; [unrolled: 1-line block ×3, first 2 shown]
	v_pk_mul_f32 v[18:19], v[22:23], s[10:11] op_sel_hi:[1,0]
	v_fma_f32 v67, -0.5, v0, v60
	v_pk_fma_f32 v[62:63], v[22:23], s[12:13], v[18:19] op_sel:[0,0,1] op_sel_hi:[1,0,0] neg_lo:[0,0,1] neg_hi:[0,0,1]
	v_pk_fma_f32 v[18:19], v[22:23], s[12:13], v[18:19] op_sel:[0,0,1] op_sel_hi:[1,0,0]
	v_pk_add_f32 v[22:23], v[84:85], v[88:89] neg_lo:[0,1] neg_hi:[0,1]
	v_mov_b32_e32 v63, v19
	v_pk_add_f32 v[18:19], v[80:81], v[74:75] neg_lo:[0,1] neg_hi:[0,1]
	v_add_f32_e32 v69, v2, v3
	v_pk_add_f32 v[18:19], v[18:19], v[22:23]
	v_pk_add_f32 v[22:23], v[74:75], v[88:89]
	v_pk_mul_f32 v[2:3], v[16:17], s[10:11]
	v_pk_fma_f32 v[22:23], v[22:23], 0.5, v[92:93] op_sel_hi:[1,0,1] neg_lo:[1,0,0] neg_hi:[1,0,0]
	v_pk_mul_f32 v[10:11], v[10:11], s[2:3] op_sel_hi:[1,0]
	v_fma_f32 v68, -0.5, v1, v61
	v_mov_b32_e32 v1, v7
	v_add_f32_e32 v7, v3, v67
	v_pk_mul_f32 v[16:17], v[20:21], s[2:3]
	v_pk_add_f32 v[64:65], v[22:23], v[10:11] op_sel:[0,1] op_sel_hi:[1,0]
	v_pk_add_f32 v[10:11], v[22:23], v[10:11] op_sel:[0,1] op_sel_hi:[1,0] neg_lo:[0,1] neg_hi:[0,1]
	v_pk_mul_f32 v[8:9], v[8:9], s[10:11] op_sel_hi:[1,0]
	v_mov_b32_e32 v0, v12
	v_sub_f32_e32 v12, v7, v2
	v_sub_f32_e32 v7, v68, v16
	;; [unrolled: 1-line block ×3, first 2 shown]
	v_pk_add_f32 v[10:11], v[10:11], v[8:9] op_sel:[0,1] op_sel_hi:[1,0]
	v_pk_add_f32 v[8:9], v[64:65], v[8:9] op_sel:[0,1] op_sel_hi:[1,0] neg_lo:[0,1] neg_hi:[0,1]
	v_add_f32_e32 v20, v17, v7
	v_add_f32_e32 v2, v2, v3
	v_add_f32_e32 v3, v16, v68
	v_fmac_f32_e32 v20, 0x3e9e377a, v69
	v_mov_b32_e32 v22, v8
	v_mov_b32_e32 v23, v11
	v_sub_f32_e32 v8, v3, v17
	v_pk_fma_f32 v[0:1], v[4:5], s[8:9], v[0:1] op_sel_hi:[1,0,1]
	v_fmac_f32_e32 v12, 0x3e9e377a, v66
	v_pk_fma_f32 v[22:23], v[18:19], s[8:9], v[22:23] op_sel_hi:[1,0,1]
	s_mov_b32 s9, s2
	v_pk_mul_f32 v[20:21], v[20:21], s[14:15] op_sel_hi:[0,1]
	v_fmac_f32_e32 v8, 0x3e9e377a, v69
	v_pk_fma_f32 v[64:65], v[12:13], s[8:9], v[20:21] neg_lo:[0,0,1] neg_hi:[0,0,1]
	v_pk_fma_f32 v[20:21], v[12:13], s[8:9], v[20:21] op_sel_hi:[0,1,1]
	v_fmac_f32_e32 v2, 0x3e9e377a, v66
	v_pk_mul_f32 v[16:17], v[8:9], s[14:15] op_sel_hi:[0,1]
	v_mov_b32_e32 v65, v21
	v_pk_fma_f32 v[20:21], v[2:3], s[18:19], v[16:17] op_sel_hi:[0,1,1] neg_lo:[0,0,1] neg_hi:[0,0,1]
	v_pk_mul_f32 v[2:3], v[14:15], s[20:21] op_sel:[1,0]
	v_mov_b32_e32 v7, v13
	v_pk_fma_f32 v[14:15], v[24:25], s[16:17], v[2:3] op_sel_hi:[0,1,1] neg_lo:[0,0,1] neg_hi:[0,0,1]
	v_pk_add_f32 v[2:3], v[92:93], v[74:75]
	v_pk_fma_f32 v[68:69], v[4:5], s[8:9], v[6:7] op_sel_hi:[1,0,1]
	v_pk_add_f32 v[2:3], v[2:3], v[80:81]
	v_mov_b32_e32 v11, v9
	v_pk_add_f32 v[2:3], v[2:3], v[84:85]
	v_pk_fma_f32 v[66:67], v[18:19], s[8:9], v[10:11] op_sel_hi:[1,0,1]
	v_pk_add_f32 v[4:5], v[2:3], v[88:89]
	v_pk_add_f32 v[2:3], v[60:61], v[56:57]
	;; [unrolled: 1-line block ×4, first 2 shown]
	v_pk_add_f32 v[16:17], v[0:1], v[62:63] neg_lo:[0,1] neg_hi:[0,1]
	v_pk_add_f32 v[2:3], v[2:3], v[48:49]
	v_pk_add_f32 v[18:19], v[22:23], v[64:65] neg_lo:[0,1] neg_hi:[0,1]
	v_pk_add_f32 v[6:7], v[2:3], v[52:53]
	v_pk_add_f32 v[0:1], v[22:23], v[64:65]
	;; [unrolled: 1-line block ×4, first 2 shown]
	v_pk_add_f32 v[6:7], v[4:5], v[6:7] neg_lo:[0,1] neg_hi:[0,1]
	v_pk_add_f32 v[4:5], v[68:69], v[14:15]
	v_pk_add_f32 v[12:13], v[66:67], v[20:21] neg_lo:[0,1] neg_hi:[0,1]
	v_pk_add_f32 v[14:15], v[68:69], v[14:15] neg_lo:[0,1] neg_hi:[0,1]
	ds_read2st64_b64 v[60:63], v96 offset0:8 offset1:10
	ds_read2st64_b64 v[78:81], v96 offset0:20 offset1:22
	;; [unrolled: 1-line block ×5, first 2 shown]
	v_accvgpr_read_b32 v20, a1
	s_waitcnt lgkmcnt(0)
	s_barrier
	ds_write_b128 v20, v[8:11]
	ds_write_b128 v20, v[0:3] offset:16
	ds_write_b128 v20, v[4:7] offset:32
	ds_write_b128 v20, v[16:19] offset:48
	ds_write_b128 v20, v[12:15] offset:64
	v_pk_add_f32 v[0:1], v[94:95], v[76:77]
	v_pk_add_f32 v[2:3], v[82:83], v[86:87]
	;; [unrolled: 1-line block ×5, first 2 shown]
	v_pk_add_f32 v[6:7], v[76:77], v[82:83] neg_lo:[0,1] neg_hi:[0,1]
	v_pk_add_f32 v[10:11], v[76:77], v[90:91] neg_lo:[0,1] neg_hi:[0,1]
	;; [unrolled: 1-line block ×3, first 2 shown]
	v_pk_add_f32 v[18:19], v[0:1], v[90:91]
	v_pk_fma_f32 v[0:1], v[2:3], 0.5, v[94:95] op_sel_hi:[1,0,1] neg_lo:[1,0,0] neg_hi:[1,0,0]
	v_pk_fma_f32 v[2:3], v[12:13], 0.5, v[94:95] op_sel_hi:[1,0,1] neg_lo:[1,0,0] neg_hi:[1,0,0]
	v_mov_b32_e32 v12, v72
	v_mov_b32_e32 v13, v64
	;; [unrolled: 1-line block ×4, first 2 shown]
	v_pk_add_f32 v[4:5], v[82:83], v[86:87] neg_lo:[0,1] neg_hi:[0,1]
	v_pk_add_f32 v[12:13], v[12:13], v[20:21] neg_lo:[0,1] neg_hi:[0,1]
	v_mov_b32_e32 v20, v73
	v_mov_b32_e32 v21, v65
	;; [unrolled: 1-line block ×4, first 2 shown]
	v_pk_add_f32 v[6:7], v[6:7], v[14:15]
	v_pk_mul_f32 v[14:15], v[10:11], s[2:3] op_sel_hi:[1,0]
	v_pk_add_f32 v[20:21], v[20:21], v[22:23] neg_lo:[0,1] neg_hi:[0,1]
	v_pk_add_f32 v[22:23], v[0:1], v[14:15] op_sel:[0,1] op_sel_hi:[1,0] neg_lo:[0,1] neg_hi:[0,1]
	v_pk_add_f32 v[0:1], v[0:1], v[14:15] op_sel:[0,1] op_sel_hi:[1,0]
	v_pk_mul_f32 v[14:15], v[4:5], s[10:11] op_sel_hi:[1,0]
	v_pk_add_f32 v[24:25], v[68:69], v[64:65] neg_lo:[0,1] neg_hi:[0,1]
	v_pk_add_f32 v[0:1], v[0:1], v[14:15] op_sel:[0,1] op_sel_hi:[1,0]
	v_pk_add_f32 v[14:15], v[22:23], v[14:15] op_sel:[0,1] op_sel_hi:[1,0] neg_lo:[0,1] neg_hi:[0,1]
	v_pk_add_f32 v[22:23], v[78:79], v[72:73] neg_lo:[0,1] neg_hi:[0,1]
	v_pk_add_f32 v[44:45], v[78:79], v[68:69] neg_lo:[0,1] neg_hi:[0,1]
	v_pk_add_f32 v[22:23], v[22:23], v[24:25]
	v_pk_add_f32 v[24:25], v[72:73], v[64:65]
	v_pk_mul_f32 v[48:49], v[44:45], s[2:3] op_sel_hi:[1,0]
	v_pk_fma_f32 v[24:25], v[24:25], 0.5, v[60:61] op_sel_hi:[1,0,1] neg_lo:[1,0,0] neg_hi:[1,0,0]
	v_pk_add_f32 v[8:9], v[82:83], v[76:77] neg_lo:[0,1] neg_hi:[0,1]
	v_pk_add_f32 v[52:53], v[24:25], v[48:49] op_sel:[0,1] op_sel_hi:[1,0]
	v_pk_add_f32 v[24:25], v[24:25], v[48:49] op_sel:[0,1] op_sel_hi:[1,0] neg_lo:[0,1] neg_hi:[0,1]
	v_pk_add_f32 v[48:49], v[72:73], v[64:65] neg_lo:[0,1] neg_hi:[0,1]
	v_pk_add_f32 v[16:17], v[86:87], v[90:91] neg_lo:[0,1] neg_hi:[0,1]
	v_pk_mul_f32 v[56:57], v[48:49], s[10:11] op_sel_hi:[1,0]
	v_pk_mul_f32 v[4:5], v[4:5], s[2:3] op_sel_hi:[1,0]
	v_pk_add_f32 v[52:53], v[56:57], v[52:53] op_sel:[1,0] op_sel_hi:[0,1]
	v_pk_add_f32 v[24:25], v[24:25], v[56:57] op_sel:[0,1] op_sel_hi:[1,0] neg_lo:[0,1] neg_hi:[0,1]
	v_pk_fma_f32 v[56:57], v[22:23], s[8:9], v[52:53] op_sel_hi:[1,0,1]
	v_mov_b32_e32 v52, v24
	v_pk_fma_f32 v[52:53], v[22:23], s[8:9], v[52:53] op_sel_hi:[1,0,1]
	v_pk_fma_f32 v[22:23], v[22:23], s[8:9], v[24:25] op_sel_hi:[1,0,1]
	v_mov_b32_e32 v24, v45
	v_mov_b32_e32 v25, v49
	;; [unrolled: 1-line block ×3, first 2 shown]
	v_pk_mul_f32 v[44:45], v[52:53], s[10:11] op_sel_hi:[1,0]
	v_pk_add_f32 v[8:9], v[8:9], v[16:17]
	v_pk_add_f32 v[16:17], v[2:3], v[4:5] op_sel:[0,1] op_sel_hi:[1,0]
	v_pk_add_f32 v[2:3], v[2:3], v[4:5] op_sel:[0,1] op_sel_hi:[1,0] neg_lo:[0,1] neg_hi:[0,1]
	v_pk_mul_f32 v[4:5], v[10:11], s[10:11] op_sel_hi:[1,0]
	v_pk_add_f32 v[10:11], v[78:79], v[68:69]
	v_pk_fma_f32 v[76:77], v[52:53], s[12:13], v[44:45] op_sel:[0,0,1] op_sel_hi:[1,0,0] neg_lo:[0,0,1] neg_hi:[0,0,1]
	v_pk_fma_f32 v[44:45], v[52:53], s[12:13], v[44:45] op_sel:[0,0,1] op_sel_hi:[1,0,0]
	v_pk_add_f32 v[2:3], v[2:3], v[4:5] op_sel:[0,1] op_sel_hi:[1,0]
	v_pk_add_f32 v[4:5], v[16:17], v[4:5] op_sel:[0,1] op_sel_hi:[1,0] neg_lo:[0,1] neg_hi:[0,1]
	v_fma_f32 v52, -0.5, v11, v61
	v_pk_mul_f32 v[16:17], v[48:49], s[2:3]
	v_mov_b32_e32 v77, v45
	v_add_f32_e32 v44, v12, v13
	v_fma_f32 v45, -0.5, v10, v60
	v_pk_mul_f32 v[10:11], v[24:25], s[10:11]
	v_sub_f32_e32 v13, v52, v16
	v_add_f32_e32 v53, v20, v21
	v_add_f32_e32 v12, v11, v45
	;; [unrolled: 1-line block ×3, first 2 shown]
	v_sub_f32_e32 v12, v12, v10
	v_fmac_f32_e32 v20, 0x3e9e377a, v53
	v_fmac_f32_e32 v12, 0x3e9e377a, v44
	v_pk_mul_f32 v[20:21], v[20:21], s[14:15] op_sel_hi:[0,1]
	v_sub_f32_e32 v11, v45, v11
	v_pk_fma_f32 v[24:25], v[12:13], s[8:9], v[20:21] neg_lo:[0,0,1] neg_hi:[0,0,1]
	v_pk_fma_f32 v[12:13], v[12:13], s[8:9], v[20:21] op_sel_hi:[0,1,1]
	v_add_f32_e32 v10, v10, v11
	v_add_f32_e32 v11, v16, v52
	v_sub_f32_e32 v12, v11, v17
	v_fmac_f32_e32 v12, 0x3e9e377a, v53
	v_mov_b32_e32 v25, v13
	v_fmac_f32_e32 v10, 0x3e9e377a, v44
	v_pk_mul_f32 v[12:13], v[12:13], s[14:15] op_sel_hi:[0,1]
	v_pk_fma_f32 v[16:17], v[10:11], s[18:19], v[12:13] op_sel_hi:[0,1,1] neg_lo:[0,0,1] neg_hi:[0,0,1]
	v_mov_b32_e32 v11, v3
	v_mov_b32_e32 v3, v5
	v_pk_fma_f32 v[20:21], v[8:9], s[8:9], v[2:3] op_sel_hi:[1,0,1]
	v_mov_b32_e32 v3, v1
	v_mov_b32_e32 v1, v15
	v_pk_fma_f32 v[44:45], v[6:7], s[8:9], v[0:1] op_sel_hi:[1,0,1]
	v_pk_mul_f32 v[0:1], v[22:23], s[20:21] op_sel:[1,0]
	v_mov_b32_e32 v2, v14
	v_pk_fma_f32 v[22:23], v[56:57], s[16:17], v[0:1] op_sel_hi:[0,1,1] neg_lo:[0,0,1] neg_hi:[0,0,1]
	v_pk_add_f32 v[0:1], v[60:61], v[78:79]
	v_mov_b32_e32 v10, v4
	v_pk_add_f32 v[0:1], v[0:1], v[72:73]
	v_pk_fma_f32 v[4:5], v[6:7], s[8:9], v[2:3] op_sel_hi:[1,0,1]
	v_pk_add_f32 v[0:1], v[0:1], v[64:65]
	v_pk_fma_f32 v[10:11], v[8:9], s[8:9], v[10:11] op_sel_hi:[1,0,1]
	v_pk_add_f32 v[12:13], v[0:1], v[68:69]
	v_pk_add_f32 v[2:3], v[4:5], v[76:77]
	;; [unrolled: 1-line block ×3, first 2 shown]
	v_pk_add_f32 v[4:5], v[4:5], v[76:77] neg_lo:[0,1] neg_hi:[0,1]
	v_pk_add_f32 v[6:7], v[10:11], v[24:25] neg_lo:[0,1] neg_hi:[0,1]
	v_pk_add_f32 v[8:9], v[10:11], v[24:25]
	v_pk_add_f32 v[10:11], v[20:21], v[16:17]
	v_pk_add_f32 v[14:15], v[18:19], v[12:13] neg_lo:[0,1] neg_hi:[0,1]
	v_pk_add_f32 v[12:13], v[44:45], v[22:23]
	v_pk_add_f32 v[16:17], v[20:21], v[16:17] neg_lo:[0,1] neg_hi:[0,1]
	v_pk_add_f32 v[18:19], v[44:45], v[22:23] neg_lo:[0,1] neg_hi:[0,1]
	ds_write_b128 v33, v[0:3]
	ds_write_b128 v33, v[8:11] offset:16
	ds_write_b128 v33, v[12:15] offset:32
	;; [unrolled: 1-line block ×4, first 2 shown]
	v_pk_add_f32 v[0:1], v[58:59], v[54:55]
	v_pk_add_f32 v[2:3], v[42:43], v[46:47]
	;; [unrolled: 1-line block ×3, first 2 shown]
	v_pk_add_f32 v[6:7], v[54:55], v[42:43] neg_lo:[0,1] neg_hi:[0,1]
	v_pk_add_f32 v[10:11], v[54:55], v[50:51] neg_lo:[0,1] neg_hi:[0,1]
	v_pk_add_f32 v[0:1], v[0:1], v[46:47]
	v_pk_add_f32 v[14:15], v[50:51], v[46:47] neg_lo:[0,1] neg_hi:[0,1]
	v_pk_add_f32 v[4:5], v[42:43], v[46:47] neg_lo:[0,1] neg_hi:[0,1]
	v_pk_add_f32 v[12:13], v[54:55], v[50:51]
	v_pk_add_f32 v[16:17], v[46:47], v[50:51] neg_lo:[0,1] neg_hi:[0,1]
	v_pk_add_f32 v[18:19], v[0:1], v[50:51]
	v_pk_add_f32 v[0:1], v[80:81], v[70:71]
	;; [unrolled: 1-line block ×4, first 2 shown]
	v_pk_fma_f32 v[2:3], v[2:3], 0.5, v[58:59] op_sel_hi:[1,0,1] neg_lo:[1,0,0] neg_hi:[1,0,0]
	v_pk_mul_f32 v[14:15], v[10:11], s[2:3] op_sel_hi:[1,0]
	v_pk_add_f32 v[8:9], v[42:43], v[54:55] neg_lo:[0,1] neg_hi:[0,1]
	v_pk_add_f32 v[42:43], v[80:81], v[70:71] neg_lo:[0,1] neg_hi:[0,1]
	v_fma_f32 v33, -0.5, v0, v62
	v_fma_f32 v64, -0.5, v1, v63
	v_pk_fma_f32 v[0:1], v[50:51], 0.5, v[62:63] op_sel_hi:[1,0,1] neg_lo:[1,0,0] neg_hi:[1,0,0]
	v_pk_add_f32 v[50:51], v[2:3], v[14:15] op_sel:[0,1] op_sel_hi:[1,0] neg_lo:[0,1] neg_hi:[0,1]
	v_pk_add_f32 v[2:3], v[2:3], v[14:15] op_sel:[0,1] op_sel_hi:[1,0]
	v_pk_mul_f32 v[14:15], v[4:5], s[10:11] op_sel_hi:[1,0]
	v_pk_add_f32 v[52:53], v[74:75], v[66:67] neg_lo:[0,1] neg_hi:[0,1]
	v_pk_add_f32 v[56:57], v[2:3], v[14:15] op_sel:[0,1] op_sel_hi:[1,0]
	v_pk_mul_f32 v[2:3], v[42:43], s[2:3] op_sel_hi:[1,0]
	v_pk_add_f32 v[44:45], v[80:81], v[74:75] neg_lo:[0,1] neg_hi:[0,1]
	v_pk_add_f32 v[54:55], v[70:71], v[66:67] neg_lo:[0,1] neg_hi:[0,1]
	v_pk_add_f32 v[14:15], v[50:51], v[14:15] op_sel:[0,1] op_sel_hi:[1,0] neg_lo:[0,1] neg_hi:[0,1]
	v_pk_add_f32 v[50:51], v[0:1], v[2:3] op_sel:[0,1] op_sel_hi:[1,0]
	v_pk_add_f32 v[0:1], v[0:1], v[2:3] op_sel:[0,1] op_sel_hi:[1,0] neg_lo:[0,1] neg_hi:[0,1]
	v_pk_mul_f32 v[2:3], v[52:53], s[10:11] op_sel_hi:[1,0]
	v_pk_add_f32 v[44:45], v[44:45], v[54:55]
	v_pk_add_f32 v[50:51], v[2:3], v[50:51] op_sel:[1,0] op_sel_hi:[0,1]
	v_pk_add_f32 v[54:55], v[0:1], v[2:3] op_sel:[0,1] op_sel_hi:[1,0] neg_lo:[0,1] neg_hi:[0,1]
	v_pk_fma_f32 v[60:61], v[44:45], s[8:9], v[50:51] op_sel_hi:[1,0,1]
	v_mov_b32_e32 v50, v54
	v_pk_fma_f32 v[0:1], v[44:45], s[8:9], v[50:51] op_sel_hi:[1,0,1]
	v_pk_add_f32 v[22:23], v[62:63], v[80:81]
	v_pk_mul_f32 v[2:3], v[0:1], s[10:11] op_sel_hi:[1,0]
	v_pk_add_f32 v[22:23], v[22:23], v[74:75]
	v_pk_fma_f32 v[50:51], v[0:1], s[12:13], v[2:3] op_sel:[0,0,1] op_sel_hi:[1,0,0] neg_lo:[0,0,1] neg_hi:[0,0,1]
	v_pk_fma_f32 v[0:1], v[0:1], s[12:13], v[2:3] op_sel:[0,0,1] op_sel_hi:[1,0,0]
	v_pk_add_f32 v[22:23], v[22:23], v[66:67]
	v_mov_b32_e32 v51, v1
	v_mov_b32_e32 v0, v14
	;; [unrolled: 1-line block ×3, first 2 shown]
	v_pk_add_f32 v[22:23], v[22:23], v[70:71]
	v_pk_fma_f32 v[62:63], v[6:7], s[8:9], v[0:1] op_sel_hi:[1,0,1]
	v_mov_b32_e32 v20, v80
	v_mov_b32_e32 v24, v81
	;; [unrolled: 1-line block ×8, first 2 shown]
	v_pk_add_f32 v[0:1], v[18:19], v[22:23]
	v_pk_add_f32 v[2:3], v[62:63], v[50:51]
	v_accvgpr_read_b32 v57, a62
	ds_write_b128 v57, v[0:3]
	v_pk_fma_f32 v[0:1], v[12:13], 0.5, v[58:59] op_sel_hi:[1,0,1] neg_lo:[1,0,0] neg_hi:[1,0,0]
	v_pk_add_f32 v[2:3], v[46:47], v[20:21] neg_lo:[0,1] neg_hi:[0,1]
	v_pk_add_f32 v[12:13], v[48:49], v[24:25] neg_lo:[0,1] neg_hi:[0,1]
	v_mov_b32_e32 v21, v43
	v_mov_b32_e32 v43, v52
	;; [unrolled: 1-line block ×3, first 2 shown]
	v_pk_mul_f32 v[4:5], v[4:5], s[2:3] op_sel_hi:[1,0]
	v_add_f32_e32 v25, v12, v13
	v_pk_mul_f32 v[12:13], v[42:43], s[10:11]
	v_pk_add_f32 v[8:9], v[8:9], v[16:17]
	v_pk_add_f32 v[16:17], v[0:1], v[4:5] op_sel:[0,1] op_sel_hi:[1,0]
	v_pk_add_f32 v[0:1], v[0:1], v[4:5] op_sel:[0,1] op_sel_hi:[1,0] neg_lo:[0,1] neg_hi:[0,1]
	v_pk_mul_f32 v[4:5], v[10:11], s[10:11] op_sel_hi:[1,0]
	v_add_f32_e32 v24, v2, v3
	v_pk_mul_f32 v[2:3], v[20:21], s[2:3]
	v_sub_f32_e32 v11, v64, v13
	v_add_f32_e32 v10, v2, v33
	v_add_f32_e32 v14, v12, v11
	v_sub_f32_e32 v10, v10, v3
	v_fmac_f32_e32 v14, 0x3e9e377a, v25
	v_pk_add_f32 v[0:1], v[0:1], v[4:5] op_sel:[0,1] op_sel_hi:[1,0]
	v_pk_add_f32 v[4:5], v[16:17], v[4:5] op_sel:[0,1] op_sel_hi:[1,0] neg_lo:[0,1] neg_hi:[0,1]
	v_fmac_f32_e32 v10, 0x3e9e377a, v24
	v_pk_mul_f32 v[16:17], v[14:15], s[14:15] op_sel_hi:[0,1]
	v_sub_f32_e32 v2, v33, v2
	v_pk_fma_f32 v[20:21], v[10:11], s[8:9], v[16:17] neg_lo:[0,0,1] neg_hi:[0,0,1]
	v_pk_fma_f32 v[10:11], v[10:11], s[8:9], v[16:17] op_sel_hi:[0,1,1]
	v_add_f32_e32 v2, v3, v2
	v_add_f32_e32 v3, v13, v64
	v_sub_f32_e32 v10, v3, v12
	v_fmac_f32_e32 v10, 0x3e9e377a, v25
	v_mov_b32_e32 v21, v11
	v_fmac_f32_e32 v2, 0x3e9e377a, v24
	v_pk_mul_f32 v[10:11], v[10:11], s[14:15] op_sel_hi:[0,1]
	v_pk_fma_f32 v[10:11], v[2:3], s[18:19], v[10:11] op_sel_hi:[0,1,1] neg_lo:[0,0,1] neg_hi:[0,0,1]
	v_mov_b32_e32 v2, v4
	v_mov_b32_e32 v3, v1
	;; [unrolled: 1-line block ×3, first 2 shown]
	v_pk_fma_f32 v[4:5], v[8:9], s[8:9], v[2:3] op_sel_hi:[1,0,1]
	v_pk_fma_f32 v[8:9], v[8:9], s[8:9], v[0:1] op_sel_hi:[1,0,1]
	v_pk_add_f32 v[0:1], v[4:5], v[20:21]
	v_pk_add_f32 v[2:3], v[8:9], v[10:11]
	v_accvgpr_read_b32 v14, a62
	ds_write_b128 v14, v[0:3] offset:16
	v_pk_fma_f32 v[0:1], v[44:45], s[8:9], v[54:55] op_sel_hi:[1,0,1]
	v_mov_b32_e32 v57, v15
	v_pk_mul_f32 v[0:1], v[0:1], s[20:21] op_sel:[1,0]
	v_pk_fma_f32 v[6:7], v[6:7], s[8:9], v[56:57] op_sel_hi:[1,0,1]
	v_pk_fma_f32 v[12:13], v[60:61], s[16:17], v[0:1] op_sel_hi:[0,1,1] neg_lo:[0,0,1] neg_hi:[0,0,1]
	v_pk_add_f32 v[2:3], v[18:19], v[22:23] neg_lo:[0,1] neg_hi:[0,1]
	v_pk_add_f32 v[0:1], v[6:7], v[12:13]
	ds_write_b128 v14, v[0:3] offset:32
	v_pk_add_f32 v[0:1], v[62:63], v[50:51] neg_lo:[0,1] neg_hi:[0,1]
	v_pk_add_f32 v[2:3], v[4:5], v[20:21] neg_lo:[0,1] neg_hi:[0,1]
	ds_write_b128 v14, v[0:3] offset:48
	v_pk_add_f32 v[0:1], v[8:9], v[10:11] neg_lo:[0,1] neg_hi:[0,1]
	v_pk_add_f32 v[2:3], v[6:7], v[12:13] neg_lo:[0,1] neg_hi:[0,1]
	ds_write_b128 v14, v[0:3] offset:64
	s_waitcnt lgkmcnt(0)
	s_barrier
	ds_read2st64_b64 v[0:3], v96 offset0:56 offset1:58
	v_accvgpr_read_b32 v6, a68
	v_accvgpr_read_b32 v7, a69
	;; [unrolled: 1-line block ×4, first 2 shown]
	s_waitcnt lgkmcnt(0)
	v_pk_mul_f32 v[4:5], v[30:31], v[2:3] op_sel:[1,0]
	s_mov_b32 s2, 0x3f5db3d7
	v_pk_fma_f32 v[42:43], v[30:31], v[2:3], v[4:5] op_sel:[0,0,1] op_sel_hi:[1,1,0]
	v_pk_fma_f32 v[44:45], v[30:31], v[2:3], v[4:5] op_sel:[0,0,1] op_sel_hi:[0,1,0] neg_lo:[0,0,1] neg_hi:[0,0,1]
	v_accvgpr_read_b32 v4, a70
	v_accvgpr_read_b32 v5, a71
	v_pk_mul_f32 v[2:3], v[4:5], v[0:1] op_sel:[1,0]
	s_mov_b32 s3, 0.5
	v_pk_fma_f32 v[46:47], v[4:5], v[0:1], v[2:3] op_sel:[0,0,1] op_sel_hi:[1,1,0]
	v_pk_fma_f32 v[48:49], v[4:5], v[0:1], v[2:3] op_sel:[0,0,1] op_sel_hi:[0,1,0] neg_lo:[0,0,1] neg_hi:[0,0,1]
	ds_read2st64_b64 v[0:3], v96 offset0:52 offset1:54
	s_mov_b32 s10, s3
	s_mov_b32 s11, s2
	s_mov_b32 s8, -0.5
	s_mov_b32 s9, s2
	s_waitcnt lgkmcnt(0)
	v_pk_mul_f32 v[4:5], v[6:7], v[2:3] op_sel:[1,0]
	v_mov_b32_e32 v47, v49
	v_pk_fma_f32 v[50:51], v[6:7], v[2:3], v[4:5] op_sel:[0,0,1] op_sel_hi:[1,1,0]
	v_pk_fma_f32 v[52:53], v[6:7], v[2:3], v[4:5] op_sel:[0,0,1] op_sel_hi:[0,1,0] neg_lo:[0,0,1] neg_hi:[0,0,1]
	v_accvgpr_read_b32 v4, a64
	v_accvgpr_read_b32 v5, a65
	v_pk_mul_f32 v[2:3], v[4:5], v[0:1] op_sel:[1,0]
	v_mov_b32_e32 v51, v53
	v_pk_fma_f32 v[18:19], v[4:5], v[0:1], v[2:3] op_sel:[0,0,1] op_sel_hi:[1,1,0]
	v_pk_fma_f32 v[20:21], v[4:5], v[0:1], v[2:3] op_sel:[0,0,1] op_sel_hi:[0,1,0] neg_lo:[0,0,1] neg_hi:[0,0,1]
	ds_read2st64_b64 v[0:3], v96 offset0:48 offset1:50
	v_mov_b32_e32 v19, v21
	v_mov_b32_e32 v43, v45
	v_accvgpr_read_b32 v33, a183
	s_waitcnt lgkmcnt(0)
	v_pk_mul_f32 v[4:5], v[8:9], v[2:3] op_sel:[1,0]
	s_nop 0
	v_pk_fma_f32 v[6:7], v[8:9], v[2:3], v[4:5] op_sel:[0,0,1] op_sel_hi:[1,1,0]
	v_pk_fma_f32 v[4:5], v[8:9], v[2:3], v[4:5] op_sel:[0,0,1] op_sel_hi:[0,1,0] neg_lo:[0,0,1] neg_hi:[0,0,1]
	v_mov_b32_e32 v2, v41
	v_pk_mul_f32 v[2:3], v[2:3], v[0:1] op_sel_hi:[0,1]
	v_pk_fma_f32 v[54:55], v[40:41], v[0:1], v[2:3] op_sel:[0,0,1] op_sel_hi:[1,1,0]
	v_pk_fma_f32 v[56:57], v[40:41], v[0:1], v[2:3] op_sel:[0,0,1] op_sel_hi:[0,1,0] neg_lo:[0,0,1] neg_hi:[0,0,1]
	ds_read2st64_b64 v[0:3], v96 offset0:36 offset1:38
	v_mov_b32_e32 v4, v207
	v_mov_b32_e32 v7, v5
	;; [unrolled: 1-line block ×3, first 2 shown]
	s_waitcnt lgkmcnt(0)
	v_pk_mul_f32 v[8:9], v[38:39], v[2:3] op_sel:[1,0]
	s_nop 0
	v_pk_fma_f32 v[40:41], v[38:39], v[2:3], v[8:9] op_sel:[0,0,1] op_sel_hi:[1,1,0]
	v_pk_fma_f32 v[38:39], v[38:39], v[2:3], v[8:9] op_sel:[0,0,1] op_sel_hi:[0,1,0] neg_lo:[0,0,1] neg_hi:[0,0,1]
	v_pk_mul_f32 v[2:3], v[204:205], v[0:1] op_sel:[1,0]
	v_mov_b32_e32 v41, v39
	v_pk_fma_f32 v[58:59], v[204:205], v[0:1], v[2:3] op_sel:[0,0,1] op_sel_hi:[1,1,0]
	v_pk_fma_f32 v[60:61], v[204:205], v[0:1], v[2:3] op_sel:[0,0,1] op_sel_hi:[0,1,0] neg_lo:[0,0,1] neg_hi:[0,0,1]
	ds_read2st64_b64 v[0:3], v96 offset0:44 offset1:46
	v_mov_b32_e32 v59, v61
	s_waitcnt lgkmcnt(0)
	v_pk_mul_f32 v[8:9], v[4:5], v[2:3] op_sel_hi:[0,1]
	v_pk_fma_f32 v[30:31], v[206:207], v[2:3], v[8:9] op_sel:[0,0,1] op_sel_hi:[1,1,0]
	v_pk_fma_f32 v[22:23], v[206:207], v[2:3], v[8:9] op_sel:[0,0,1] op_sel_hi:[0,1,0] neg_lo:[0,0,1] neg_hi:[0,0,1]
	v_mov_b32_e32 v2, v101
	v_pk_mul_f32 v[2:3], v[2:3], v[0:1] op_sel_hi:[0,1]
	v_pk_fma_f32 v[24:25], v[100:101], v[0:1], v[2:3] op_sel:[0,0,1] op_sel_hi:[1,1,0]
	v_pk_fma_f32 v[62:63], v[100:101], v[0:1], v[2:3] op_sel:[0,0,1] op_sel_hi:[0,1,0] neg_lo:[0,0,1] neg_hi:[0,0,1]
	ds_read2st64_b64 v[0:3], v96 offset0:32 offset1:34
	v_mov_b32_e32 v4, v151
	v_mov_b32_e32 v25, v63
	;; [unrolled: 1-line block ×3, first 2 shown]
	s_waitcnt lgkmcnt(0)
	v_pk_mul_f32 v[8:9], v[98:99], v[2:3] op_sel:[1,0]
	s_nop 0
	v_pk_fma_f32 v[64:65], v[98:99], v[2:3], v[8:9] op_sel:[0,0,1] op_sel_hi:[1,1,0]
	v_pk_fma_f32 v[66:67], v[98:99], v[2:3], v[8:9] op_sel:[0,0,1] op_sel_hi:[0,1,0] neg_lo:[0,0,1] neg_hi:[0,0,1]
	v_pk_mul_f32 v[2:3], v[148:149], v[0:1] op_sel:[1,0]
	v_mov_b32_e32 v65, v67
	v_pk_fma_f32 v[68:69], v[148:149], v[0:1], v[2:3] op_sel:[0,0,1] op_sel_hi:[1,1,0]
	v_pk_fma_f32 v[70:71], v[148:149], v[0:1], v[2:3] op_sel:[0,0,1] op_sel_hi:[0,1,0] neg_lo:[0,0,1] neg_hi:[0,0,1]
	ds_read2st64_b64 v[0:3], v96 offset0:40 offset1:42
	v_mov_b32_e32 v69, v71
	v_pk_add_f32 v[20:21], v[68:69], v[18:19]
	v_pk_add_f32 v[70:71], v[68:69], v[18:19] neg_lo:[0,1] neg_hi:[0,1]
	s_waitcnt lgkmcnt(0)
	v_pk_mul_f32 v[8:9], v[4:5], v[2:3] op_sel_hi:[0,1]
	v_pk_fma_f32 v[72:73], v[150:151], v[2:3], v[8:9] op_sel:[0,0,1] op_sel_hi:[1,1,0]
	v_pk_fma_f32 v[74:75], v[150:151], v[2:3], v[8:9] op_sel:[0,0,1] op_sel_hi:[0,1,0] neg_lo:[0,0,1] neg_hi:[0,0,1]
	v_mov_b32_e32 v2, v155
	v_pk_mul_f32 v[2:3], v[2:3], v[0:1] op_sel_hi:[0,1]
	v_pk_fma_f32 v[8:9], v[154:155], v[0:1], v[2:3] op_sel:[0,0,1] op_sel_hi:[1,1,0]
	v_pk_fma_f32 v[76:77], v[154:155], v[0:1], v[2:3] op_sel:[0,0,1] op_sel_hi:[0,1,0] neg_lo:[0,0,1] neg_hi:[0,0,1]
	ds_read2st64_b64 v[0:3], v96 offset0:28 offset1:30
	v_mov_b32_e32 v4, v29
	v_mov_b32_e32 v9, v77
	;; [unrolled: 1-line block ×3, first 2 shown]
	s_waitcnt lgkmcnt(0)
	v_pk_mul_f32 v[10:11], v[152:153], v[2:3] op_sel:[1,0]
	s_nop 0
	v_pk_fma_f32 v[78:79], v[152:153], v[2:3], v[10:11] op_sel:[0,0,1] op_sel_hi:[1,1,0]
	v_pk_fma_f32 v[80:81], v[152:153], v[2:3], v[10:11] op_sel:[0,0,1] op_sel_hi:[0,1,0] neg_lo:[0,0,1] neg_hi:[0,0,1]
	v_mov_b32_e32 v2, v37
	v_pk_mul_f32 v[2:3], v[2:3], v[0:1] op_sel_hi:[0,1]
	v_pk_fma_f32 v[14:15], v[36:37], v[0:1], v[2:3] op_sel:[0,0,1] op_sel_hi:[1,1,0]
	v_pk_fma_f32 v[16:17], v[36:37], v[0:1], v[2:3] op_sel:[0,0,1] op_sel_hi:[0,1,0] neg_lo:[0,0,1] neg_hi:[0,0,1]
	ds_read2st64_b64 v[0:3], v96 offset0:16 offset1:18
	v_mov_b32_e32 v79, v81
	v_pk_add_f32 v[76:77], v[78:79], v[6:7] neg_lo:[0,1] neg_hi:[0,1]
	v_accvgpr_read_b32 v15, a73
	s_waitcnt lgkmcnt(0)
	v_pk_mul_f32 v[10:11], v[34:35], v[2:3] op_sel:[1,0]
	s_nop 0
	v_pk_fma_f32 v[12:13], v[34:35], v[2:3], v[10:11] op_sel:[0,0,1] op_sel_hi:[0,1,0]
	v_pk_fma_f32 v[10:11], v[34:35], v[2:3], v[10:11] op_sel:[0,0,1] op_sel_hi:[0,1,0] neg_lo:[0,0,1] neg_hi:[0,0,1]
	v_pk_mul_f32 v[2:3], v[26:27], v[0:1] op_sel:[1,0]
	v_accvgpr_read_b32 v13, a63
	v_pk_fma_f32 v[34:35], v[26:27], v[0:1], v[2:3] op_sel:[0,0,1] op_sel_hi:[0,1,0]
	v_pk_fma_f32 v[26:27], v[26:27], v[0:1], v[2:3] op_sel:[0,0,1] op_sel_hi:[0,1,0] neg_lo:[0,0,1] neg_hi:[0,0,1]
	ds_read2st64_b64 v[0:3], v96 offset0:24 offset1:26
	v_mov_b32_e32 v35, v27
	s_waitcnt lgkmcnt(0)
	v_pk_mul_f32 v[36:37], v[4:5], v[2:3] op_sel_hi:[0,1]
	v_pk_fma_f32 v[82:83], v[28:29], v[2:3], v[36:37] op_sel:[0,0,1] op_sel_hi:[1,1,0]
	v_pk_fma_f32 v[28:29], v[28:29], v[2:3], v[36:37] op_sel:[0,0,1] op_sel_hi:[0,1,0] neg_lo:[0,0,1] neg_hi:[0,0,1]
	v_mov_b32_e32 v2, v217
	v_pk_mul_f32 v[2:3], v[2:3], v[0:1] op_sel_hi:[0,1]
	v_pk_fma_f32 v[36:37], v[216:217], v[0:1], v[2:3] op_sel:[0,0,1] op_sel_hi:[1,1,0]
	v_pk_fma_f32 v[84:85], v[216:217], v[0:1], v[2:3] op_sel:[0,0,1] op_sel_hi:[0,1,0] neg_lo:[0,0,1] neg_hi:[0,0,1]
	ds_read2st64_b64 v[0:3], v96 offset0:12 offset1:14
	v_mov_b32_e32 v4, v197
	v_mov_b32_e32 v37, v85
	v_mov_b32_e32 v83, v29
	s_waitcnt lgkmcnt(0)
	v_pk_mul_f32 v[86:87], v[214:215], v[2:3] op_sel:[1,0]
	s_nop 0
	v_pk_fma_f32 v[88:89], v[214:215], v[2:3], v[86:87] op_sel:[0,0,1] op_sel_hi:[0,1,0]
	v_pk_fma_f32 v[86:87], v[214:215], v[2:3], v[86:87] op_sel:[0,0,1] op_sel_hi:[0,1,0] neg_lo:[0,0,1] neg_hi:[0,0,1]
	v_pk_mul_f32 v[2:3], v[194:195], v[0:1] op_sel:[1,0]
	v_mov_b32_e32 v89, v87
	v_pk_fma_f32 v[90:91], v[194:195], v[0:1], v[2:3] op_sel:[0,0,1] op_sel_hi:[0,1,0]
	v_pk_fma_f32 v[92:93], v[194:195], v[0:1], v[2:3] op_sel:[0,0,1] op_sel_hi:[0,1,0] neg_lo:[0,0,1] neg_hi:[0,0,1]
	ds_read2st64_b64 v[0:3], v96 offset0:20 offset1:22
	v_mov_b32_e32 v91, v93
	v_pk_add_f32 v[68:69], v[90:91], v[68:69]
	v_fmac_f32_e32 v90, -0.5, v20
	v_fmac_f32_e32 v93, -0.5, v21
	s_waitcnt lgkmcnt(0)
	v_pk_mul_f32 v[94:95], v[4:5], v[2:3] op_sel_hi:[0,1]
	v_pk_fma_f32 v[98:99], v[196:197], v[2:3], v[94:95] op_sel:[0,0,1] op_sel_hi:[1,1,0]
	v_pk_fma_f32 v[94:95], v[196:197], v[2:3], v[94:95] op_sel:[0,0,1] op_sel_hi:[0,1,0] neg_lo:[0,0,1] neg_hi:[0,0,1]
	v_mov_b32_e32 v2, v177
	v_pk_mul_f32 v[2:3], v[2:3], v[0:1] op_sel_hi:[0,1]
	v_pk_fma_f32 v[100:101], v[176:177], v[0:1], v[2:3] op_sel:[0,0,1] op_sel_hi:[1,1,0]
	v_pk_fma_f32 v[148:149], v[176:177], v[0:1], v[2:3] op_sel:[0,0,1] op_sel_hi:[0,1,0] neg_lo:[0,0,1] neg_hi:[0,0,1]
	ds_read2st64_b64 v[0:3], v96 offset0:8 offset1:10
	v_mov_b32_e32 v101, v149
	v_mov_b32_e32 v99, v95
	v_pk_add_f32 v[20:21], v[98:99], v[72:73] neg_lo:[0,1] neg_hi:[0,1]
	v_pk_add_f32 v[18:19], v[68:69], v[18:19]
	s_waitcnt lgkmcnt(0)
	v_pk_mul_f32 v[150:151], v[174:175], v[2:3] op_sel:[1,0]
	v_pk_mul_f32 v[20:21], v[20:21], s[2:3] op_sel_hi:[1,0]
	v_pk_fma_f32 v[152:153], v[174:175], v[2:3], v[150:151] op_sel:[0,0,1] op_sel_hi:[0,1,0]
	v_pk_fma_f32 v[150:151], v[174:175], v[2:3], v[150:151] op_sel:[0,0,1] op_sel_hi:[0,1,0] neg_lo:[0,0,1] neg_hi:[0,0,1]
	v_mov_b32_e32 v153, v151
	v_pk_add_f32 v[2:3], v[78:79], v[6:7]
	v_pk_add_f32 v[4:5], v[152:153], v[78:79]
	v_fmac_f32_e32 v152, -0.5, v2
	v_pk_add_f32 v[78:79], v[4:5], v[6:7]
	v_fmac_f32_e32 v151, -0.5, v3
	ds_read2st64_b64 v[2:5], v96 offset1:2
	v_pk_add_f32 v[52:53], v[88:89], v[64:65]
	s_waitcnt lgkmcnt(0)
	v_pk_add_f32 v[6:7], v[2:3], v[100:101]
	s_nop 0
	v_pk_add_f32 v[80:81], v[6:7], v[8:9]
	v_pk_add_f32 v[6:7], v[100:101], v[8:9]
	v_pk_add_f32 v[8:9], v[100:101], v[8:9] neg_lo:[0,1] neg_hi:[0,1]
	v_pk_fma_f32 v[2:3], v[6:7], 0.5, v[2:3] op_sel_hi:[1,0,1] neg_lo:[1,0,0] neg_hi:[1,0,0]
	v_pk_mul_f32 v[6:7], v[8:9], s[2:3] op_sel_hi:[1,0]
	v_fmamk_f32 v8, v77, 0xbf5db3d7, v152
	v_pk_add_f32 v[100:101], v[2:3], v[6:7] op_sel:[0,1] op_sel_hi:[1,0] neg_lo:[0,1] neg_hi:[0,1]
	v_pk_add_f32 v[2:3], v[2:3], v[6:7] op_sel:[0,1] op_sel_hi:[1,0]
	v_fmamk_f32 v6, v76, 0x3f5db3d7, v151
	v_fmac_f32_e32 v151, 0xbf5db3d7, v76
	v_mov_b32_e32 v10, v151
	v_pk_mul_f32 v[6:7], v[6:7], s[2:3] op_sel_hi:[0,1]
	v_fmac_f32_e32 v152, 0x3f5db3d7, v77
	v_pk_mul_f32 v[76:77], v[10:11], s[2:3] op_sel_hi:[0,1]
	v_pk_fma_f32 v[148:149], v[8:9], s[10:11], v[6:7] neg_lo:[0,0,1] neg_hi:[0,0,1]
	v_pk_fma_f32 v[6:7], v[8:9], s[10:11], v[6:7] op_sel_hi:[0,1,1]
	v_mov_b32_e32 v155, v3
	v_pk_fma_f32 v[76:77], v[152:153], s[8:9], v[76:77] op_sel_hi:[0,1,1] neg_lo:[0,0,1] neg_hi:[0,0,1]
	v_mov_b32_e32 v3, v101
	v_mov_b32_e32 v149, v7
	;; [unrolled: 1-line block ×3, first 2 shown]
	v_pk_add_f32 v[174:175], v[80:81], v[78:79]
	v_pk_add_f32 v[78:79], v[80:81], v[78:79] neg_lo:[0,1] neg_hi:[0,1]
	v_pk_add_f32 v[80:81], v[2:3], v[76:77]
	v_accvgpr_read_b32 v10, a63
	ds_read2st64_b64 v[6:9], v96 offset0:4 offset1:6
	s_waitcnt lgkmcnt(0)
	s_barrier
	ds_write2_b64 v10, v[80:81], v[78:79] offset0:20 offset1:30
	v_pk_add_f32 v[78:79], v[154:155], v[148:149] neg_lo:[0,1] neg_hi:[0,1]
	v_pk_add_f32 v[2:3], v[2:3], v[76:77] neg_lo:[0,1] neg_hi:[0,1]
	ds_write2_b64 v10, v[78:79], v[2:3] offset0:40 offset1:50
	v_pk_add_f32 v[2:3], v[98:99], v[72:73]
	v_fmamk_f32 v10, v70, 0x3f5db3d7, v93
	v_pk_fma_f32 v[2:3], v[2:3], 0.5, v[4:5] op_sel_hi:[1,0,1] neg_lo:[1,0,0] neg_hi:[1,0,0]
	v_pk_add_f32 v[4:5], v[4:5], v[98:99]
	v_pk_add_f32 v[68:69], v[2:3], v[20:21] op_sel:[0,1] op_sel_hi:[1,0] neg_lo:[0,1] neg_hi:[0,1]
	v_pk_add_f32 v[2:3], v[2:3], v[20:21] op_sel:[0,1] op_sel_hi:[1,0]
	v_pk_mul_f32 v[20:21], v[10:11], s[2:3] op_sel_hi:[0,1]
	v_fmamk_f32 v10, v71, 0xbf5db3d7, v90
	v_fmac_f32_e32 v93, 0xbf5db3d7, v70
	v_pk_add_f32 v[4:5], v[4:5], v[72:73]
	v_pk_fma_f32 v[72:73], v[10:11], s[10:11], v[20:21] neg_lo:[0,0,1] neg_hi:[0,0,1]
	v_pk_fma_f32 v[20:21], v[10:11], s[10:11], v[20:21] op_sel_hi:[0,1,1]
	v_mov_b32_e32 v10, v93
	v_fmac_f32_e32 v90, 0x3f5db3d7, v71
	v_pk_mul_f32 v[70:71], v[10:11], s[2:3] op_sel_hi:[0,1]
	v_pk_add_f32 v[176:177], v[154:155], v[148:149]
	v_mov_b32_e32 v73, v21
	v_mov_b32_e32 v21, v3
	v_pk_fma_f32 v[70:71], v[90:91], s[8:9], v[70:71] op_sel_hi:[0,1,1] neg_lo:[0,0,1] neg_hi:[0,0,1]
	v_mov_b32_e32 v3, v69
	ds_write2_b64 v13, v[174:175], v[176:177] offset1:10
	v_mov_b32_e32 v20, v68
	v_pk_add_f32 v[74:75], v[4:5], v[18:19]
	v_accvgpr_read_b32 v13, a72
	v_pk_add_f32 v[4:5], v[4:5], v[18:19] neg_lo:[0,1] neg_hi:[0,1]
	v_pk_add_f32 v[18:19], v[2:3], v[70:71]
	ds_write2_b64 v13, v[18:19], v[4:5] offset0:20 offset1:30
	v_pk_add_f32 v[4:5], v[20:21], v[72:73] neg_lo:[0,1] neg_hi:[0,1]
	v_pk_add_f32 v[2:3], v[2:3], v[70:71] neg_lo:[0,1] neg_hi:[0,1]
	ds_write2_b64 v13, v[4:5], v[2:3] offset0:40 offset1:50
	v_pk_add_f32 v[2:3], v[36:37], v[24:25]
	v_pk_add_f32 v[4:5], v[36:37], v[24:25] neg_lo:[0,1] neg_hi:[0,1]
	v_pk_fma_f32 v[2:3], v[2:3], 0.5, v[6:7] op_sel_hi:[1,0,1] neg_lo:[1,0,0] neg_hi:[1,0,0]
	v_pk_mul_f32 v[4:5], v[4:5], s[2:3] op_sel_hi:[1,0]
	v_pk_add_f32 v[76:77], v[20:21], v[72:73]
	v_pk_add_f32 v[18:19], v[2:3], v[4:5] op_sel:[0,1] op_sel_hi:[1,0] neg_lo:[0,1] neg_hi:[0,1]
	v_pk_add_f32 v[2:3], v[4:5], v[2:3] op_sel:[1,0] op_sel_hi:[0,1]
	v_pk_add_f32 v[4:5], v[64:65], v[50:51]
	v_pk_add_f32 v[20:21], v[64:65], v[50:51] neg_lo:[0,1] neg_hi:[0,1]
	v_fmac_f32_e32 v87, -0.5, v5
	v_fmac_f32_e32 v88, -0.5, v4
	v_pk_add_f32 v[4:5], v[6:7], v[36:37]
	v_fmamk_f32 v7, v20, 0x3f5db3d7, v87
	ds_write2_b64 v13, v[74:75], v[76:77] offset1:10
	v_fmamk_f32 v6, v21, 0xbf5db3d7, v88
	v_mul_f32_e32 v10, 0xbf5db3d7, v7
	v_mul_f32_e32 v13, 0.5, v7
	v_pk_add_f32 v[50:51], v[52:53], v[50:51]
	v_pk_add_f32 v[4:5], v[4:5], v[24:25]
	v_fmac_f32_e32 v10, 0.5, v6
	v_fmac_f32_e32 v13, 0x3f5db3d7, v6
	v_add_f32_e32 v6, v18, v10
	v_add_f32_e32 v7, v3, v13
	v_pk_add_f32 v[24:25], v[4:5], v[50:51]
	v_fmac_f32_e32 v87, 0xbf5db3d7, v20
	ds_write2_b64 v15, v[24:25], v[6:7] offset1:10
	v_mov_b32_e32 v6, v87
	v_fmac_f32_e32 v88, 0x3f5db3d7, v21
	v_pk_mul_f32 v[6:7], v[6:7], s[2:3] op_sel_hi:[0,1]
	v_pk_fma_f32 v[6:7], v[88:89], s[8:9], v[6:7] op_sel_hi:[0,1,1] neg_lo:[0,0,1] neg_hi:[0,0,1]
	v_mov_b32_e32 v20, v2
	v_mov_b32_e32 v21, v19
	v_pk_add_f32 v[4:5], v[4:5], v[50:51] neg_lo:[0,1] neg_hi:[0,1]
	v_pk_add_f32 v[24:25], v[20:21], v[6:7]
	ds_write2_b64 v15, v[24:25], v[4:5] offset0:20 offset1:30
	v_sub_f32_e32 v2, v18, v10
	v_sub_f32_e32 v3, v3, v13
	v_pk_add_f32 v[4:5], v[20:21], v[6:7] neg_lo:[0,1] neg_hi:[0,1]
	ds_write2_b64 v15, v[2:3], v[4:5] offset0:40 offset1:50
	v_pk_add_f32 v[2:3], v[82:83], v[30:31]
	v_pk_add_f32 v[6:7], v[82:83], v[30:31] neg_lo:[0,1] neg_hi:[0,1]
	v_pk_fma_f32 v[2:3], v[2:3], 0.5, v[8:9] op_sel_hi:[1,0,1] neg_lo:[1,0,0] neg_hi:[1,0,0]
	v_pk_mul_f32 v[6:7], v[6:7], s[2:3] op_sel_hi:[1,0]
	v_pk_add_f32 v[4:5], v[8:9], v[82:83]
	v_pk_add_f32 v[8:9], v[2:3], v[6:7] op_sel:[0,1] op_sel_hi:[1,0] neg_lo:[0,1] neg_hi:[0,1]
	v_pk_add_f32 v[2:3], v[6:7], v[2:3] op_sel:[1,0] op_sel_hi:[0,1]
	v_pk_add_f32 v[6:7], v[58:59], v[46:47]
	v_pk_add_f32 v[18:19], v[58:59], v[46:47] neg_lo:[0,1] neg_hi:[0,1]
	v_fmac_f32_e32 v27, -0.5, v7
	v_pk_add_f32 v[20:21], v[34:35], v[58:59]
	v_fmac_f32_e32 v34, -0.5, v6
	v_fmamk_f32 v7, v18, 0x3f5db3d7, v27
	v_fmamk_f32 v6, v19, 0xbf5db3d7, v34
	v_mul_f32_e32 v10, 0xbf5db3d7, v7
	v_mul_f32_e32 v13, 0.5, v7
	v_pk_add_f32 v[20:21], v[20:21], v[46:47]
	v_pk_add_f32 v[4:5], v[4:5], v[30:31]
	v_fmac_f32_e32 v10, 0.5, v6
	v_fmac_f32_e32 v13, 0x3f5db3d7, v6
	v_add_f32_e32 v6, v8, v10
	v_add_f32_e32 v7, v3, v13
	v_pk_add_f32 v[22:23], v[4:5], v[20:21]
	v_accvgpr_read_b32 v15, a74
	v_fmac_f32_e32 v27, 0xbf5db3d7, v18
	ds_write2_b64 v15, v[22:23], v[6:7] offset1:10
	v_mov_b32_e32 v6, v27
	v_fmac_f32_e32 v34, 0x3f5db3d7, v19
	v_pk_mul_f32 v[6:7], v[6:7], s[2:3] op_sel_hi:[0,1]
	v_pk_fma_f32 v[6:7], v[34:35], s[8:9], v[6:7] op_sel_hi:[0,1,1] neg_lo:[0,0,1] neg_hi:[0,0,1]
	v_mov_b32_e32 v18, v2
	v_mov_b32_e32 v19, v9
	v_pk_add_f32 v[4:5], v[4:5], v[20:21] neg_lo:[0,1] neg_hi:[0,1]
	v_pk_add_f32 v[20:21], v[18:19], v[6:7]
	ds_write2_b64 v15, v[20:21], v[4:5] offset0:20 offset1:30
	v_sub_f32_e32 v2, v8, v10
	v_sub_f32_e32 v3, v3, v13
	v_pk_add_f32 v[4:5], v[18:19], v[6:7] neg_lo:[0,1] neg_hi:[0,1]
	ds_write2_b64 v15, v[2:3], v[4:5] offset0:40 offset1:50
	v_mov_b32_e32 v15, v17
	v_pk_add_f32 v[2:3], v[14:15], v[54:55]
	v_pk_add_f32 v[4:5], v[14:15], v[54:55] neg_lo:[0,1] neg_hi:[0,1]
	v_pk_fma_f32 v[2:3], v[2:3], 0.5, v[0:1] op_sel_hi:[1,0,1] neg_lo:[1,0,0] neg_hi:[1,0,0]
	v_pk_mul_f32 v[4:5], v[4:5], s[2:3] op_sel_hi:[1,0]
	v_mov_b32_e32 v13, v11
	v_pk_add_f32 v[6:7], v[2:3], v[4:5] op_sel:[0,1] op_sel_hi:[1,0] neg_lo:[0,1] neg_hi:[0,1]
	v_pk_add_f32 v[2:3], v[4:5], v[2:3] op_sel:[1,0] op_sel_hi:[0,1]
	v_pk_add_f32 v[4:5], v[40:41], v[42:43]
	v_pk_add_f32 v[8:9], v[40:41], v[42:43] neg_lo:[0,1] neg_hi:[0,1]
	v_fmac_f32_e32 v11, -0.5, v5
	v_pk_add_f32 v[0:1], v[0:1], v[14:15]
	v_pk_add_f32 v[14:15], v[12:13], v[40:41]
	v_fmac_f32_e32 v12, -0.5, v4
	v_fmamk_f32 v5, v8, 0x3f5db3d7, v11
	v_fmamk_f32 v4, v9, 0xbf5db3d7, v12
	v_mul_f32_e32 v13, 0xbf5db3d7, v5
	v_mul_f32_e32 v18, 0.5, v5
	v_pk_add_f32 v[14:15], v[14:15], v[42:43]
	v_pk_add_f32 v[0:1], v[0:1], v[54:55]
	v_fmac_f32_e32 v13, 0.5, v4
	v_fmac_f32_e32 v18, 0x3f5db3d7, v4
	v_add_f32_e32 v4, v6, v13
	v_add_f32_e32 v5, v3, v18
	v_pk_add_f32 v[16:17], v[0:1], v[14:15]
	v_accvgpr_read_b32 v19, a75
	v_fmac_f32_e32 v11, 0xbf5db3d7, v8
	ds_write2_b64 v19, v[16:17], v[4:5] offset1:10
	v_mov_b32_e32 v4, v11
	v_fmac_f32_e32 v12, 0x3f5db3d7, v9
	v_pk_mul_f32 v[4:5], v[4:5], s[2:3] op_sel_hi:[0,1]
	v_pk_fma_f32 v[4:5], v[12:13], s[8:9], v[4:5] op_sel_hi:[0,1,1] neg_lo:[0,0,1] neg_hi:[0,0,1]
	v_mov_b32_e32 v8, v2
	v_mov_b32_e32 v9, v7
	v_pk_add_f32 v[0:1], v[0:1], v[14:15] neg_lo:[0,1] neg_hi:[0,1]
	v_pk_add_f32 v[10:11], v[8:9], v[4:5]
	ds_write2_b64 v19, v[10:11], v[0:1] offset0:20 offset1:30
	v_sub_f32_e32 v0, v6, v13
	v_sub_f32_e32 v1, v3, v18
	v_pk_add_f32 v[2:3], v[8:9], v[4:5] neg_lo:[0,1] neg_hi:[0,1]
	ds_write2_b64 v19, v[0:1], v[2:3] offset0:40 offset1:50
	s_waitcnt lgkmcnt(0)
	s_barrier
	ds_read2st64_b64 v[0:3], v96 offset0:56 offset1:58
	v_accvgpr_read_b32 v6, a88
	v_accvgpr_read_b32 v7, a89
	;; [unrolled: 1-line block ×4, first 2 shown]
	s_waitcnt lgkmcnt(0)
	v_pk_mul_f32 v[4:5], v[6:7], v[2:3] op_sel:[1,0]
	s_nop 0
	v_pk_fma_f32 v[18:19], v[6:7], v[2:3], v[4:5] op_sel:[0,0,1] op_sel_hi:[1,1,0]
	v_pk_fma_f32 v[20:21], v[6:7], v[2:3], v[4:5] op_sel:[0,0,1] op_sel_hi:[0,1,0] neg_lo:[0,0,1] neg_hi:[0,0,1]
	v_accvgpr_read_b32 v4, a86
	v_accvgpr_read_b32 v5, a87
	v_pk_mul_f32 v[2:3], v[4:5], v[0:1] op_sel:[1,0]
	v_accvgpr_read_b32 v6, a84
	v_pk_fma_f32 v[30:31], v[4:5], v[0:1], v[2:3] op_sel:[0,0,1] op_sel_hi:[1,1,0]
	v_pk_fma_f32 v[38:39], v[4:5], v[0:1], v[2:3] op_sel:[0,0,1] op_sel_hi:[0,1,0] neg_lo:[0,0,1] neg_hi:[0,0,1]
	ds_read2st64_b64 v[0:3], v96 offset0:52 offset1:54
	v_accvgpr_read_b32 v7, a85
	v_accvgpr_read_b32 v19, a98
	v_mov_b32_e32 v31, v39
	s_waitcnt lgkmcnt(0)
	v_pk_mul_f32 v[4:5], v[6:7], v[2:3] op_sel:[1,0]
	s_nop 0
	v_pk_fma_f32 v[40:41], v[6:7], v[2:3], v[4:5] op_sel:[0,0,1] op_sel_hi:[1,1,0]
	v_pk_fma_f32 v[42:43], v[6:7], v[2:3], v[4:5] op_sel:[0,0,1] op_sel_hi:[0,1,0] neg_lo:[0,0,1] neg_hi:[0,0,1]
	v_accvgpr_read_b32 v4, a82
	v_accvgpr_read_b32 v5, a83
	v_pk_mul_f32 v[2:3], v[4:5], v[0:1] op_sel:[1,0]
	v_accvgpr_read_b32 v6, a90
	v_pk_fma_f32 v[44:45], v[4:5], v[0:1], v[2:3] op_sel:[0,0,1] op_sel_hi:[1,1,0]
	v_pk_fma_f32 v[46:47], v[4:5], v[0:1], v[2:3] op_sel:[0,0,1] op_sel_hi:[0,1,0] neg_lo:[0,0,1] neg_hi:[0,0,1]
	ds_read2st64_b64 v[0:3], v96 offset0:48 offset1:50
	v_accvgpr_read_b32 v7, a91
	v_mov_b32_e32 v45, v47
	v_mov_b32_e32 v41, v43
	s_waitcnt lgkmcnt(0)
	v_pk_mul_f32 v[4:5], v[6:7], v[2:3] op_sel:[1,0]
	s_nop 0
	v_pk_fma_f32 v[48:49], v[6:7], v[2:3], v[4:5] op_sel:[0,0,1] op_sel_hi:[1,1,0]
	v_pk_fma_f32 v[50:51], v[6:7], v[2:3], v[4:5] op_sel:[0,0,1] op_sel_hi:[0,1,0] neg_lo:[0,0,1] neg_hi:[0,0,1]
	v_accvgpr_read_b32 v4, a92
	v_accvgpr_read_b32 v5, a93
	v_pk_mul_f32 v[2:3], v[4:5], v[0:1] op_sel:[1,0]
	v_accvgpr_read_b32 v6, a94
	v_pk_fma_f32 v[52:53], v[4:5], v[0:1], v[2:3] op_sel:[0,0,1] op_sel_hi:[1,1,0]
	v_pk_fma_f32 v[54:55], v[4:5], v[0:1], v[2:3] op_sel:[0,0,1] op_sel_hi:[0,1,0] neg_lo:[0,0,1] neg_hi:[0,0,1]
	ds_read2st64_b64 v[0:3], v96 offset0:44 offset1:46
	v_accvgpr_read_b32 v7, a95
	v_mov_b32_e32 v53, v55
	;; [unrolled: 15-line block ×5, first 2 shown]
	v_mov_b32_e32 v73, v75
	s_waitcnt lgkmcnt(0)
	v_pk_mul_f32 v[4:5], v[6:7], v[2:3] op_sel:[1,0]
	s_nop 0
	v_pk_fma_f32 v[80:81], v[6:7], v[2:3], v[4:5] op_sel:[0,0,1] op_sel_hi:[1,1,0]
	v_pk_fma_f32 v[82:83], v[6:7], v[2:3], v[4:5] op_sel:[0,0,1] op_sel_hi:[0,1,0] neg_lo:[0,0,1] neg_hi:[0,0,1]
	v_accvgpr_read_b32 v4, a76
	v_accvgpr_read_b32 v5, a77
	v_pk_mul_f32 v[2:3], v[4:5], v[0:1] op_sel:[1,0]
	v_mov_b32_e32 v81, v83
	v_pk_fma_f32 v[84:85], v[4:5], v[0:1], v[2:3] op_sel:[0,0,1] op_sel_hi:[1,1,0]
	v_pk_fma_f32 v[86:87], v[4:5], v[0:1], v[2:3] op_sel:[0,0,1] op_sel_hi:[0,1,0] neg_lo:[0,0,1] neg_hi:[0,0,1]
	ds_read2st64_b64 v[0:3], v96 offset0:28 offset1:30
	v_mov_b32_e32 v85, v87
	s_waitcnt lgkmcnt(0)
	v_pk_mul_f32 v[4:5], v[8:9], v[2:3] op_sel:[1,0]
	s_nop 0
	v_pk_fma_f32 v[6:7], v[8:9], v[2:3], v[4:5] op_sel:[0,0,1] op_sel_hi:[1,1,0]
	v_pk_fma_f32 v[2:3], v[8:9], v[2:3], v[4:5] op_sel:[0,0,1] op_sel_hi:[0,1,0] neg_lo:[0,0,1] neg_hi:[0,0,1]
	v_mov_b32_e32 v7, v3
	ds_read2st64_b64 v[2:5], v96 offset1:2
	s_waitcnt lgkmcnt(0)
	v_pk_add_f32 v[88:89], v[2:3], v[6:7] neg_lo:[0,1] neg_hi:[0,1]
	ds_read2st64_b64 v[6:9], v96 offset0:24 offset1:26
	ds_read2st64_b64 v[10:13], v96 offset0:20 offset1:22
	;; [unrolled: 1-line block ×6, first 2 shown]
	v_pk_fma_f32 v[2:3], v[2:3], 2.0, v[88:89] op_sel_hi:[1,0,1] neg_lo:[0,0,1] neg_hi:[0,0,1]
	s_waitcnt lgkmcnt(0)
	s_barrier
	ds_write2_b64 v19, v[2:3], v[88:89] offset1:60
	v_pk_add_f32 v[2:3], v[4:5], v[84:85] neg_lo:[0,1] neg_hi:[0,1]
	v_accvgpr_read_b32 v19, a99
	v_pk_fma_f32 v[4:5], v[4:5], 2.0, v[2:3] op_sel_hi:[1,0,1] neg_lo:[0,0,1] neg_hi:[0,0,1]
	ds_write2_b64 v19, v[4:5], v[2:3] offset1:60
	v_pk_add_f32 v[2:3], v[34:35], v[80:81] neg_lo:[0,1] neg_hi:[0,1]
	v_accvgpr_read_b32 v19, a102
	v_pk_fma_f32 v[4:5], v[34:35], 2.0, v[2:3] op_sel_hi:[1,0,1] neg_lo:[0,0,1] neg_hi:[0,0,1]
	ds_write2_b64 v19, v[4:5], v[2:3] offset1:60
	v_pk_add_f32 v[2:3], v[36:37], v[76:77] neg_lo:[0,1] neg_hi:[0,1]
	v_accvgpr_read_b32 v19, a103
	v_pk_fma_f32 v[4:5], v[36:37], 2.0, v[2:3] op_sel_hi:[1,0,1] neg_lo:[0,0,1] neg_hi:[0,0,1]
	ds_write2_b64 v19, v[4:5], v[2:3] offset1:60
	v_pk_add_f32 v[2:3], v[26:27], v[72:73] neg_lo:[0,1] neg_hi:[0,1]
	v_accvgpr_read_b32 v19, a104
	v_pk_fma_f32 v[4:5], v[26:27], 2.0, v[2:3] op_sel_hi:[1,0,1] neg_lo:[0,0,1] neg_hi:[0,0,1]
	ds_write2_b64 v19, v[4:5], v[2:3] offset1:60
	v_pk_add_f32 v[2:3], v[28:29], v[68:69] neg_lo:[0,1] neg_hi:[0,1]
	v_accvgpr_read_b32 v19, a105
	v_pk_fma_f32 v[4:5], v[28:29], 2.0, v[2:3] op_sel_hi:[1,0,1] neg_lo:[0,0,1] neg_hi:[0,0,1]
	ds_write2_b64 v19, v[4:5], v[2:3] offset1:60
	v_pk_add_f32 v[2:3], v[22:23], v[64:65] neg_lo:[0,1] neg_hi:[0,1]
	v_accvgpr_read_b32 v19, a112
	v_pk_fma_f32 v[4:5], v[22:23], 2.0, v[2:3] op_sel_hi:[1,0,1] neg_lo:[0,0,1] neg_hi:[0,0,1]
	ds_write2_b64 v19, v[4:5], v[2:3] offset1:60
	v_pk_add_f32 v[2:3], v[24:25], v[60:61] neg_lo:[0,1] neg_hi:[0,1]
	v_accvgpr_read_b32 v19, a113
	v_pk_fma_f32 v[4:5], v[24:25], 2.0, v[2:3] op_sel_hi:[1,0,1] neg_lo:[0,0,1] neg_hi:[0,0,1]
	ds_write2_b64 v19, v[4:5], v[2:3] offset1:60
	v_pk_add_f32 v[2:3], v[14:15], v[56:57] neg_lo:[0,1] neg_hi:[0,1]
	v_mov_b32_e32 v19, v21
	v_pk_fma_f32 v[4:5], v[14:15], 2.0, v[2:3] op_sel_hi:[1,0,1] neg_lo:[0,0,1] neg_hi:[0,0,1]
	v_accvgpr_read_b32 v14, a114
	ds_write2_b64 v14, v[4:5], v[2:3] offset1:60
	v_pk_add_f32 v[2:3], v[16:17], v[52:53] neg_lo:[0,1] neg_hi:[0,1]
	v_accvgpr_read_b32 v14, a115
	v_pk_fma_f32 v[4:5], v[16:17], 2.0, v[2:3] op_sel_hi:[1,0,1] neg_lo:[0,0,1] neg_hi:[0,0,1]
	ds_write2_b64 v14, v[4:5], v[2:3] offset1:60
	v_pk_add_f32 v[2:3], v[10:11], v[48:49] neg_lo:[0,1] neg_hi:[0,1]
	s_nop 0
	v_pk_fma_f32 v[4:5], v[10:11], 2.0, v[2:3] op_sel_hi:[1,0,1] neg_lo:[0,0,1] neg_hi:[0,0,1]
	v_accvgpr_read_b32 v10, a116
	ds_write2_b64 v10, v[4:5], v[2:3] offset1:60
	v_pk_add_f32 v[2:3], v[12:13], v[44:45] neg_lo:[0,1] neg_hi:[0,1]
	v_accvgpr_read_b32 v10, a117
	v_pk_fma_f32 v[4:5], v[12:13], 2.0, v[2:3] op_sel_hi:[1,0,1] neg_lo:[0,0,1] neg_hi:[0,0,1]
	ds_write2_b64 v10, v[4:5], v[2:3] offset1:60
	v_pk_add_f32 v[2:3], v[6:7], v[40:41] neg_lo:[0,1] neg_hi:[0,1]
	s_nop 0
	v_pk_fma_f32 v[4:5], v[6:7], 2.0, v[2:3] op_sel_hi:[1,0,1] neg_lo:[0,0,1] neg_hi:[0,0,1]
	v_accvgpr_read_b32 v6, a118
	ds_write2_b64 v6, v[4:5], v[2:3] offset1:60
	v_pk_add_f32 v[2:3], v[8:9], v[30:31] neg_lo:[0,1] neg_hi:[0,1]
	v_accvgpr_read_b32 v6, a119
	v_pk_fma_f32 v[4:5], v[8:9], 2.0, v[2:3] op_sel_hi:[1,0,1] neg_lo:[0,0,1] neg_hi:[0,0,1]
	ds_write2_b64 v6, v[4:5], v[2:3] offset1:60
	v_pk_add_f32 v[2:3], v[0:1], v[18:19] neg_lo:[0,1] neg_hi:[0,1]
	v_accvgpr_read_b32 v4, a120
	v_pk_fma_f32 v[0:1], v[0:1], 2.0, v[2:3] op_sel_hi:[1,0,1] neg_lo:[0,0,1] neg_hi:[0,0,1]
	ds_write2_b64 v4, v[0:1], v[2:3] offset1:60
	s_waitcnt lgkmcnt(0)
	s_barrier
	ds_read2st64_b64 v[0:3], v96 offset0:56 offset1:58
	v_accvgpr_read_b32 v6, a122
	v_accvgpr_read_b32 v7, a123
	v_accvgpr_read_b32 v8, a150
	v_accvgpr_read_b32 v9, a151
	s_waitcnt lgkmcnt(0)
	v_pk_mul_f32 v[4:5], v[6:7], v[2:3] op_sel:[1,0]
	s_nop 0
	v_pk_fma_f32 v[30:31], v[6:7], v[2:3], v[4:5] op_sel:[0,0,1] op_sel_hi:[1,1,0]
	v_pk_fma_f32 v[34:35], v[6:7], v[2:3], v[4:5] op_sel:[0,0,1] op_sel_hi:[0,1,0] neg_lo:[0,0,1] neg_hi:[0,0,1]
	v_accvgpr_read_b32 v4, a124
	v_accvgpr_read_b32 v5, a125
	v_pk_mul_f32 v[2:3], v[4:5], v[0:1] op_sel:[1,0]
	v_accvgpr_read_b32 v6, a126
	v_pk_fma_f32 v[36:37], v[4:5], v[0:1], v[2:3] op_sel:[0,0,1] op_sel_hi:[1,1,0]
	v_pk_fma_f32 v[38:39], v[4:5], v[0:1], v[2:3] op_sel:[0,0,1] op_sel_hi:[0,1,0] neg_lo:[0,0,1] neg_hi:[0,0,1]
	ds_read2st64_b64 v[0:3], v96 offset0:52 offset1:54
	v_accvgpr_read_b32 v7, a127
	v_accvgpr_read_b32 v31, a121
	v_mov_b32_e32 v37, v39
	s_waitcnt lgkmcnt(0)
	v_pk_mul_f32 v[4:5], v[6:7], v[2:3] op_sel:[1,0]
	s_nop 0
	v_pk_fma_f32 v[40:41], v[6:7], v[2:3], v[4:5] op_sel:[0,0,1] op_sel_hi:[1,1,0]
	v_pk_fma_f32 v[42:43], v[6:7], v[2:3], v[4:5] op_sel:[0,0,1] op_sel_hi:[0,1,0] neg_lo:[0,0,1] neg_hi:[0,0,1]
	v_accvgpr_read_b32 v4, a128
	v_accvgpr_read_b32 v5, a129
	v_pk_mul_f32 v[2:3], v[4:5], v[0:1] op_sel:[1,0]
	v_accvgpr_read_b32 v6, a130
	v_pk_fma_f32 v[44:45], v[4:5], v[0:1], v[2:3] op_sel:[0,0,1] op_sel_hi:[1,1,0]
	v_pk_fma_f32 v[46:47], v[4:5], v[0:1], v[2:3] op_sel:[0,0,1] op_sel_hi:[0,1,0] neg_lo:[0,0,1] neg_hi:[0,0,1]
	ds_read2st64_b64 v[0:3], v96 offset0:48 offset1:50
	v_accvgpr_read_b32 v7, a131
	v_mov_b32_e32 v45, v47
	v_mov_b32_e32 v41, v43
	s_waitcnt lgkmcnt(0)
	v_pk_mul_f32 v[4:5], v[6:7], v[2:3] op_sel:[1,0]
	s_nop 0
	v_pk_fma_f32 v[48:49], v[6:7], v[2:3], v[4:5] op_sel:[0,0,1] op_sel_hi:[1,1,0]
	v_pk_fma_f32 v[50:51], v[6:7], v[2:3], v[4:5] op_sel:[0,0,1] op_sel_hi:[0,1,0] neg_lo:[0,0,1] neg_hi:[0,0,1]
	v_accvgpr_read_b32 v4, a132
	v_accvgpr_read_b32 v5, a133
	v_pk_mul_f32 v[2:3], v[4:5], v[0:1] op_sel:[1,0]
	v_accvgpr_read_b32 v6, a134
	v_pk_fma_f32 v[52:53], v[4:5], v[0:1], v[2:3] op_sel:[0,0,1] op_sel_hi:[1,1,0]
	v_pk_fma_f32 v[54:55], v[4:5], v[0:1], v[2:3] op_sel:[0,0,1] op_sel_hi:[0,1,0] neg_lo:[0,0,1] neg_hi:[0,0,1]
	ds_read2st64_b64 v[0:3], v96 offset0:44 offset1:46
	v_accvgpr_read_b32 v7, a135
	v_mov_b32_e32 v53, v55
	;; [unrolled: 15-line block ×5, first 2 shown]
	v_mov_b32_e32 v73, v75
	s_waitcnt lgkmcnt(0)
	v_pk_mul_f32 v[4:5], v[6:7], v[2:3] op_sel:[1,0]
	s_nop 0
	v_pk_fma_f32 v[80:81], v[6:7], v[2:3], v[4:5] op_sel:[0,0,1] op_sel_hi:[1,1,0]
	v_pk_fma_f32 v[82:83], v[6:7], v[2:3], v[4:5] op_sel:[0,0,1] op_sel_hi:[0,1,0] neg_lo:[0,0,1] neg_hi:[0,0,1]
	v_accvgpr_read_b32 v4, a148
	v_accvgpr_read_b32 v5, a149
	v_pk_mul_f32 v[2:3], v[4:5], v[0:1] op_sel:[1,0]
	v_mov_b32_e32 v81, v83
	v_pk_fma_f32 v[84:85], v[4:5], v[0:1], v[2:3] op_sel:[0,0,1] op_sel_hi:[1,1,0]
	v_pk_fma_f32 v[86:87], v[4:5], v[0:1], v[2:3] op_sel:[0,0,1] op_sel_hi:[0,1,0] neg_lo:[0,0,1] neg_hi:[0,0,1]
	ds_read2st64_b64 v[0:3], v96 offset0:28 offset1:30
	v_mov_b32_e32 v85, v87
	s_waitcnt lgkmcnt(0)
	v_pk_mul_f32 v[4:5], v[8:9], v[2:3] op_sel:[1,0]
	s_nop 0
	v_pk_fma_f32 v[6:7], v[8:9], v[2:3], v[4:5] op_sel:[0,0,1] op_sel_hi:[1,1,0]
	v_pk_fma_f32 v[2:3], v[8:9], v[2:3], v[4:5] op_sel:[0,0,1] op_sel_hi:[0,1,0] neg_lo:[0,0,1] neg_hi:[0,0,1]
	v_mov_b32_e32 v7, v3
	ds_read2st64_b64 v[2:5], v96 offset1:2
	s_waitcnt lgkmcnt(0)
	v_pk_add_f32 v[88:89], v[2:3], v[6:7] neg_lo:[0,1] neg_hi:[0,1]
	ds_read2st64_b64 v[6:9], v96 offset0:24 offset1:26
	ds_read2st64_b64 v[10:13], v96 offset0:20 offset1:22
	ds_read2st64_b64 v[14:17], v96 offset0:16 offset1:18
	ds_read2st64_b64 v[18:21], v96 offset0:12 offset1:14
	ds_read2st64_b64 v[22:25], v96 offset0:8 offset1:10
	ds_read2st64_b64 v[26:29], v96 offset0:4 offset1:6
	v_pk_fma_f32 v[2:3], v[2:3], 2.0, v[88:89] op_sel_hi:[1,0,1] neg_lo:[0,0,1] neg_hi:[0,0,1]
	s_waitcnt lgkmcnt(0)
	s_barrier
	ds_write2_b64 v31, v[2:3], v[88:89] offset1:120
	v_pk_add_f32 v[2:3], v[4:5], v[84:85] neg_lo:[0,1] neg_hi:[0,1]
	v_accvgpr_read_b32 v31, a152
	v_pk_fma_f32 v[4:5], v[4:5], 2.0, v[2:3] op_sel_hi:[1,0,1] neg_lo:[0,0,1] neg_hi:[0,0,1]
	ds_write2_b64 v31, v[4:5], v[2:3] offset1:120
	v_pk_add_f32 v[2:3], v[26:27], v[80:81] neg_lo:[0,1] neg_hi:[0,1]
	v_mov_b32_e32 v31, v35
	v_pk_fma_f32 v[4:5], v[26:27], 2.0, v[2:3] op_sel_hi:[1,0,1] neg_lo:[0,0,1] neg_hi:[0,0,1]
	v_accvgpr_read_b32 v26, a153
	ds_write2_b64 v26, v[4:5], v[2:3] offset1:120
	v_pk_add_f32 v[2:3], v[28:29], v[76:77] neg_lo:[0,1] neg_hi:[0,1]
	v_accvgpr_read_b32 v26, a154
	v_pk_fma_f32 v[4:5], v[28:29], 2.0, v[2:3] op_sel_hi:[1,0,1] neg_lo:[0,0,1] neg_hi:[0,0,1]
	ds_write2_b64 v26, v[4:5], v[2:3] offset1:120
	v_pk_add_f32 v[2:3], v[22:23], v[72:73] neg_lo:[0,1] neg_hi:[0,1]
	s_nop 0
	v_pk_fma_f32 v[4:5], v[22:23], 2.0, v[2:3] op_sel_hi:[1,0,1] neg_lo:[0,0,1] neg_hi:[0,0,1]
	v_accvgpr_read_b32 v22, a155
	ds_write2_b64 v22, v[4:5], v[2:3] offset1:120
	v_pk_add_f32 v[2:3], v[24:25], v[68:69] neg_lo:[0,1] neg_hi:[0,1]
	v_accvgpr_read_b32 v22, a156
	v_pk_fma_f32 v[4:5], v[24:25], 2.0, v[2:3] op_sel_hi:[1,0,1] neg_lo:[0,0,1] neg_hi:[0,0,1]
	ds_write2_b64 v22, v[4:5], v[2:3] offset1:120
	v_pk_add_f32 v[2:3], v[18:19], v[64:65] neg_lo:[0,1] neg_hi:[0,1]
	s_nop 0
	;; [unrolled: 9-line block ×4, first 2 shown]
	v_pk_fma_f32 v[4:5], v[10:11], 2.0, v[2:3] op_sel_hi:[1,0,1] neg_lo:[0,0,1] neg_hi:[0,0,1]
	v_accvgpr_read_b32 v10, a161
	ds_write2_b64 v10, v[4:5], v[2:3] offset1:120
	v_pk_add_f32 v[2:3], v[12:13], v[44:45] neg_lo:[0,1] neg_hi:[0,1]
	v_accvgpr_read_b32 v10, a162
	v_pk_fma_f32 v[4:5], v[12:13], 2.0, v[2:3] op_sel_hi:[1,0,1] neg_lo:[0,0,1] neg_hi:[0,0,1]
	ds_write2_b64 v10, v[4:5], v[2:3] offset1:120
	v_pk_add_f32 v[2:3], v[6:7], v[40:41] neg_lo:[0,1] neg_hi:[0,1]
	v_accvgpr_read_b32 v10, a166
	v_pk_fma_f32 v[4:5], v[6:7], 2.0, v[2:3] op_sel_hi:[1,0,1] neg_lo:[0,0,1] neg_hi:[0,0,1]
	v_accvgpr_read_b32 v6, a163
	ds_write2_b64 v6, v[4:5], v[2:3] offset1:120
	v_pk_add_f32 v[2:3], v[8:9], v[36:37] neg_lo:[0,1] neg_hi:[0,1]
	v_accvgpr_read_b32 v6, a164
	v_pk_fma_f32 v[4:5], v[8:9], 2.0, v[2:3] op_sel_hi:[1,0,1] neg_lo:[0,0,1] neg_hi:[0,0,1]
	ds_write2_b64 v6, v[4:5], v[2:3] offset1:120
	v_pk_add_f32 v[2:3], v[0:1], v[30:31] neg_lo:[0,1] neg_hi:[0,1]
	v_accvgpr_read_b32 v4, a165
	v_pk_fma_f32 v[0:1], v[0:1], 2.0, v[2:3] op_sel_hi:[1,0,1] neg_lo:[0,0,1] neg_hi:[0,0,1]
	ds_write2_b64 v4, v[0:1], v[2:3] offset1:120
	s_waitcnt lgkmcnt(0)
	s_barrier
	ds_read2st64_b64 v[0:3], v96 offset0:56 offset1:58
	v_accvgpr_read_b32 v4, a166
	v_accvgpr_read_b32 v5, a167
	;; [unrolled: 1-line block ×3, first 2 shown]
	s_waitcnt lgkmcnt(0)
	v_pk_mul_f32 v[8:9], v[4:5], v[2:3] op_sel:[1,0]
	s_nop 0
	v_pk_fma_f32 v[30:31], v[4:5], v[2:3], v[8:9] op_sel:[0,0,1] op_sel_hi:[1,1,0]
	ds_read2st64_b64 v[4:7], v96 offset0:52 offset1:54
	v_pk_fma_f32 v[34:35], v[10:11], v[2:3], v[8:9] op_sel:[0,0,1] op_sel_hi:[0,1,0] neg_lo:[0,0,1] neg_hi:[0,0,1]
	v_pk_mul_f32 v[2:3], v[200:201], v[0:1] op_sel:[1,0]
	v_accvgpr_read_b32 v31, a168
	v_pk_fma_f32 v[36:37], v[200:201], v[0:1], v[2:3] op_sel:[0,0,1] op_sel_hi:[1,1,0]
	v_pk_fma_f32 v[38:39], v[200:201], v[0:1], v[2:3] op_sel:[0,0,1] op_sel_hi:[0,1,0] neg_lo:[0,0,1] neg_hi:[0,0,1]
	ds_read2st64_b64 v[0:3], v96 offset0:48 offset1:50
	s_waitcnt lgkmcnt(1)
	v_pk_mul_f32 v[8:9], v[254:255], v[6:7] op_sel:[1,0]
	v_mov_b32_e32 v37, v39
	v_pk_fma_f32 v[40:41], v[254:255], v[6:7], v[8:9] op_sel:[0,0,1] op_sel_hi:[1,1,0]
	v_pk_fma_f32 v[42:43], v[254:255], v[6:7], v[8:9] op_sel:[0,0,1] op_sel_hi:[0,1,0] neg_lo:[0,0,1] neg_hi:[0,0,1]
	v_pk_mul_f32 v[6:7], v[212:213], v[4:5] op_sel:[1,0]
	s_waitcnt lgkmcnt(0)
	v_pk_mul_f32 v[8:9], v[250:251], v[2:3] op_sel:[1,0]
	v_pk_fma_f32 v[44:45], v[212:213], v[4:5], v[6:7] op_sel:[0,0,1] op_sel_hi:[1,1,0]
	v_pk_fma_f32 v[46:47], v[212:213], v[4:5], v[6:7] op_sel:[0,0,1] op_sel_hi:[0,1,0] neg_lo:[0,0,1] neg_hi:[0,0,1]
	ds_read2st64_b64 v[4:7], v96 offset0:44 offset1:46
	v_pk_fma_f32 v[48:49], v[250:251], v[2:3], v[8:9] op_sel:[0,0,1] op_sel_hi:[1,1,0]
	v_pk_fma_f32 v[50:51], v[250:251], v[2:3], v[8:9] op_sel:[0,0,1] op_sel_hi:[0,1,0] neg_lo:[0,0,1] neg_hi:[0,0,1]
	v_pk_mul_f32 v[2:3], v[218:219], v[0:1] op_sel:[1,0]
	v_mov_b32_e32 v49, v51
	v_pk_fma_f32 v[52:53], v[218:219], v[0:1], v[2:3] op_sel:[0,0,1] op_sel_hi:[1,1,0]
	v_pk_fma_f32 v[54:55], v[218:219], v[0:1], v[2:3] op_sel:[0,0,1] op_sel_hi:[0,1,0] neg_lo:[0,0,1] neg_hi:[0,0,1]
	ds_read2st64_b64 v[0:3], v96 offset0:40 offset1:42
	s_waitcnt lgkmcnt(1)
	v_pk_mul_f32 v[8:9], v[240:241], v[6:7] op_sel:[1,0]
	v_mov_b32_e32 v53, v55
	v_pk_fma_f32 v[56:57], v[240:241], v[6:7], v[8:9] op_sel:[0,0,1] op_sel_hi:[1,1,0]
	v_pk_fma_f32 v[58:59], v[240:241], v[6:7], v[8:9] op_sel:[0,0,1] op_sel_hi:[0,1,0] neg_lo:[0,0,1] neg_hi:[0,0,1]
	v_pk_mul_f32 v[6:7], v[246:247], v[4:5] op_sel:[1,0]
	s_waitcnt lgkmcnt(0)
	v_pk_mul_f32 v[8:9], v[236:237], v[2:3] op_sel:[1,0]
	v_pk_fma_f32 v[60:61], v[246:247], v[4:5], v[6:7] op_sel:[0,0,1] op_sel_hi:[1,1,0]
	v_pk_fma_f32 v[62:63], v[246:247], v[4:5], v[6:7] op_sel:[0,0,1] op_sel_hi:[0,1,0] neg_lo:[0,0,1] neg_hi:[0,0,1]
	ds_read2st64_b64 v[4:7], v96 offset0:36 offset1:38
	v_pk_fma_f32 v[64:65], v[236:237], v[2:3], v[8:9] op_sel:[0,0,1] op_sel_hi:[1,1,0]
	v_pk_fma_f32 v[66:67], v[236:237], v[2:3], v[8:9] op_sel:[0,0,1] op_sel_hi:[0,1,0] neg_lo:[0,0,1] neg_hi:[0,0,1]
	v_pk_mul_f32 v[2:3], v[244:245], v[0:1] op_sel:[1,0]
	v_mov_b32_e32 v65, v67
	v_pk_fma_f32 v[68:69], v[244:245], v[0:1], v[2:3] op_sel:[0,0,1] op_sel_hi:[1,1,0]
	v_pk_fma_f32 v[70:71], v[244:245], v[0:1], v[2:3] op_sel:[0,0,1] op_sel_hi:[0,1,0] neg_lo:[0,0,1] neg_hi:[0,0,1]
	ds_read2st64_b64 v[0:3], v96 offset0:32 offset1:34
	s_waitcnt lgkmcnt(1)
	v_pk_mul_f32 v[8:9], v[234:235], v[6:7] op_sel:[1,0]
	v_mov_b32_e32 v69, v71
	v_pk_fma_f32 v[72:73], v[234:235], v[6:7], v[8:9] op_sel:[0,0,1] op_sel_hi:[1,1,0]
	v_pk_fma_f32 v[74:75], v[234:235], v[6:7], v[8:9] op_sel:[0,0,1] op_sel_hi:[0,1,0] neg_lo:[0,0,1] neg_hi:[0,0,1]
	v_pk_mul_f32 v[6:7], v[242:243], v[4:5] op_sel:[1,0]
	v_mov_b32_e32 v73, v75
	v_pk_fma_f32 v[76:77], v[242:243], v[4:5], v[6:7] op_sel:[0,0,1] op_sel_hi:[1,1,0]
	v_pk_fma_f32 v[78:79], v[242:243], v[4:5], v[6:7] op_sel:[0,0,1] op_sel_hi:[0,1,0] neg_lo:[0,0,1] neg_hi:[0,0,1]
	s_waitcnt lgkmcnt(0)
	v_pk_mul_f32 v[4:5], v[248:249], v[2:3] op_sel:[1,0]
	v_mov_b32_e32 v77, v79
	v_pk_fma_f32 v[80:81], v[248:249], v[2:3], v[4:5] op_sel:[0,0,1] op_sel_hi:[1,1,0]
	v_pk_fma_f32 v[82:83], v[248:249], v[2:3], v[4:5] op_sel:[0,0,1] op_sel_hi:[0,1,0] neg_lo:[0,0,1] neg_hi:[0,0,1]
	v_pk_mul_f32 v[2:3], v[238:239], v[0:1] op_sel:[1,0]
	v_mov_b32_e32 v81, v83
	v_pk_fma_f32 v[84:85], v[238:239], v[0:1], v[2:3] op_sel:[0,0,1] op_sel_hi:[1,1,0]
	v_pk_fma_f32 v[86:87], v[238:239], v[0:1], v[2:3] op_sel:[0,0,1] op_sel_hi:[0,1,0] neg_lo:[0,0,1] neg_hi:[0,0,1]
	ds_read2st64_b64 v[0:3], v96 offset0:28 offset1:30
	v_mov_b32_e32 v85, v87
	v_mov_b32_e32 v61, v63
	;; [unrolled: 1-line block ×4, first 2 shown]
	s_waitcnt lgkmcnt(0)
	v_pk_mul_f32 v[4:5], v[232:233], v[2:3] op_sel:[1,0]
	v_mov_b32_e32 v41, v43
	v_pk_fma_f32 v[6:7], v[232:233], v[2:3], v[4:5] op_sel:[0,0,1] op_sel_hi:[1,1,0]
	v_pk_fma_f32 v[2:3], v[232:233], v[2:3], v[4:5] op_sel:[0,0,1] op_sel_hi:[0,1,0] neg_lo:[0,0,1] neg_hi:[0,0,1]
	v_mov_b32_e32 v7, v3
	ds_read2st64_b64 v[2:5], v96 offset1:2
	s_waitcnt lgkmcnt(0)
	v_pk_add_f32 v[88:89], v[2:3], v[6:7] neg_lo:[0,1] neg_hi:[0,1]
	s_nop 0
	v_pk_fma_f32 v[2:3], v[2:3], 2.0, v[88:89] op_sel_hi:[1,0,1] neg_lo:[0,0,1] neg_hi:[0,0,1]
	ds_read2st64_b64 v[6:9], v96 offset0:4 offset1:6
	ds_read2st64_b64 v[10:13], v96 offset0:24 offset1:26
	;; [unrolled: 1-line block ×6, first 2 shown]
	s_waitcnt lgkmcnt(0)
	s_barrier
	ds_write2_b64 v96, v[2:3], v[88:89] offset1:240
	v_pk_add_f32 v[2:3], v[4:5], v[84:85] neg_lo:[0,1] neg_hi:[0,1]
	s_nop 0
	v_pk_fma_f32 v[4:5], v[4:5], 2.0, v[2:3] op_sel_hi:[1,0,1] neg_lo:[0,0,1] neg_hi:[0,0,1]
	ds_write2_b64 v31, v[4:5], v[2:3] offset1:240
	v_pk_add_f32 v[2:3], v[6:7], v[80:81] neg_lo:[0,1] neg_hi:[0,1]
	v_mov_b32_e32 v31, v35
	v_pk_fma_f32 v[4:5], v[6:7], 2.0, v[2:3] op_sel_hi:[1,0,1] neg_lo:[0,0,1] neg_hi:[0,0,1]
	v_accvgpr_read_b32 v6, a169
	ds_write2_b64 v6, v[4:5], v[2:3] offset1:240
	v_pk_add_f32 v[2:3], v[8:9], v[76:77] neg_lo:[0,1] neg_hi:[0,1]
	v_accvgpr_read_b32 v6, a170
	v_pk_fma_f32 v[4:5], v[8:9], 2.0, v[2:3] op_sel_hi:[1,0,1] neg_lo:[0,0,1] neg_hi:[0,0,1]
	ds_write2_b64 v6, v[4:5], v[2:3] offset1:240
	v_pk_add_f32 v[2:3], v[26:27], v[72:73] neg_lo:[0,1] neg_hi:[0,1]
	v_accvgpr_read_b32 v6, a171
	v_pk_fma_f32 v[4:5], v[26:27], 2.0, v[2:3] op_sel_hi:[1,0,1] neg_lo:[0,0,1] neg_hi:[0,0,1]
	ds_write2_b64 v6, v[4:5], v[2:3] offset1:240
	v_pk_add_f32 v[2:3], v[28:29], v[68:69] neg_lo:[0,1] neg_hi:[0,1]
	v_accvgpr_read_b32 v6, a172
	v_pk_fma_f32 v[4:5], v[28:29], 2.0, v[2:3] op_sel_hi:[1,0,1] neg_lo:[0,0,1] neg_hi:[0,0,1]
	ds_write2_b64 v6, v[4:5], v[2:3] offset1:240
	v_pk_add_f32 v[2:3], v[22:23], v[64:65] neg_lo:[0,1] neg_hi:[0,1]
	v_accvgpr_read_b32 v6, a173
	v_pk_fma_f32 v[4:5], v[22:23], 2.0, v[2:3] op_sel_hi:[1,0,1] neg_lo:[0,0,1] neg_hi:[0,0,1]
	ds_write2_b64 v6, v[4:5], v[2:3] offset1:240
	v_pk_add_f32 v[2:3], v[24:25], v[60:61] neg_lo:[0,1] neg_hi:[0,1]
	v_accvgpr_read_b32 v6, a174
	v_pk_fma_f32 v[4:5], v[24:25], 2.0, v[2:3] op_sel_hi:[1,0,1] neg_lo:[0,0,1] neg_hi:[0,0,1]
	ds_write2_b64 v6, v[4:5], v[2:3] offset1:240
	v_pk_add_f32 v[2:3], v[18:19], v[56:57] neg_lo:[0,1] neg_hi:[0,1]
	v_accvgpr_read_b32 v6, a175
	v_pk_fma_f32 v[4:5], v[18:19], 2.0, v[2:3] op_sel_hi:[1,0,1] neg_lo:[0,0,1] neg_hi:[0,0,1]
	ds_write2_b64 v6, v[4:5], v[2:3] offset1:240
	v_pk_add_f32 v[2:3], v[20:21], v[52:53] neg_lo:[0,1] neg_hi:[0,1]
	v_accvgpr_read_b32 v6, a176
	v_pk_fma_f32 v[4:5], v[20:21], 2.0, v[2:3] op_sel_hi:[1,0,1] neg_lo:[0,0,1] neg_hi:[0,0,1]
	ds_write2_b64 v6, v[4:5], v[2:3] offset1:240
	v_pk_add_f32 v[2:3], v[14:15], v[48:49] neg_lo:[0,1] neg_hi:[0,1]
	v_accvgpr_read_b32 v6, a177
	v_pk_fma_f32 v[4:5], v[14:15], 2.0, v[2:3] op_sel_hi:[1,0,1] neg_lo:[0,0,1] neg_hi:[0,0,1]
	ds_write2_b64 v6, v[4:5], v[2:3] offset1:240
	v_pk_add_f32 v[2:3], v[16:17], v[44:45] neg_lo:[0,1] neg_hi:[0,1]
	v_accvgpr_read_b32 v6, a178
	v_pk_fma_f32 v[4:5], v[16:17], 2.0, v[2:3] op_sel_hi:[1,0,1] neg_lo:[0,0,1] neg_hi:[0,0,1]
	ds_write2_b64 v6, v[4:5], v[2:3] offset1:240
	v_pk_add_f32 v[2:3], v[10:11], v[40:41] neg_lo:[0,1] neg_hi:[0,1]
	v_accvgpr_read_b32 v6, a179
	v_pk_fma_f32 v[4:5], v[10:11], 2.0, v[2:3] op_sel_hi:[1,0,1] neg_lo:[0,0,1] neg_hi:[0,0,1]
	ds_write2_b64 v6, v[4:5], v[2:3] offset1:240
	v_pk_add_f32 v[2:3], v[12:13], v[36:37] neg_lo:[0,1] neg_hi:[0,1]
	v_accvgpr_read_b32 v6, a180
	v_pk_fma_f32 v[4:5], v[12:13], 2.0, v[2:3] op_sel_hi:[1,0,1] neg_lo:[0,0,1] neg_hi:[0,0,1]
	ds_write2_b64 v6, v[4:5], v[2:3] offset1:240
	v_pk_add_f32 v[2:3], v[0:1], v[30:31] neg_lo:[0,1] neg_hi:[0,1]
	v_accvgpr_read_b32 v4, a181
	v_pk_fma_f32 v[0:1], v[0:1], 2.0, v[2:3] op_sel_hi:[1,0,1] neg_lo:[0,0,1] neg_hi:[0,0,1]
	ds_write2_b64 v4, v[0:1], v[2:3] offset1:240
	s_waitcnt lgkmcnt(0)
	s_barrier
	ds_read2st64_b64 v[0:3], v96 offset0:32 offset1:34
	ds_read2st64_b64 v[4:7], v96 offset0:40 offset1:42
	s_waitcnt lgkmcnt(1)
	v_pk_mul_f32 v[8:9], v[252:253], v[0:1] op_sel:[1,0]
	s_nop 0
	v_pk_fma_f32 v[34:35], v[252:253], v[0:1], v[8:9] op_sel:[0,0,1] op_sel_hi:[1,1,0]
	v_pk_fma_f32 v[36:37], v[252:253], v[0:1], v[8:9] op_sel:[0,0,1] op_sel_hi:[0,1,0] neg_lo:[0,0,1] neg_hi:[0,0,1]
	v_pk_mul_f32 v[0:1], v[190:191], v[2:3] op_sel:[1,0]
	s_waitcnt lgkmcnt(0)
	v_pk_mul_f32 v[8:9], v[192:193], v[4:5] op_sel:[1,0]
	v_pk_fma_f32 v[12:13], v[190:191], v[2:3], v[0:1] op_sel:[0,0,1] op_sel_hi:[1,1,0]
	v_pk_fma_f32 v[14:15], v[190:191], v[2:3], v[0:1] op_sel:[0,0,1] op_sel_hi:[0,1,0] neg_lo:[0,0,1] neg_hi:[0,0,1]
	ds_read2st64_b64 v[0:3], v96 offset0:56 offset1:58
	v_pk_fma_f32 v[38:39], v[192:193], v[4:5], v[8:9] op_sel:[0,0,1] op_sel_hi:[1,1,0]
	v_pk_fma_f32 v[40:41], v[192:193], v[4:5], v[8:9] op_sel:[0,0,1] op_sel_hi:[0,1,0] neg_lo:[0,0,1] neg_hi:[0,0,1]
	v_pk_mul_f32 v[4:5], v[182:183], v[6:7] op_sel:[1,0]
	v_mov_b32_e32 v13, v15
	v_pk_fma_f32 v[42:43], v[182:183], v[6:7], v[4:5] op_sel:[0,0,1] op_sel_hi:[1,1,0]
	v_pk_fma_f32 v[44:45], v[182:183], v[6:7], v[4:5] op_sel:[0,0,1] op_sel_hi:[0,1,0] neg_lo:[0,0,1] neg_hi:[0,0,1]
	s_waitcnt lgkmcnt(0)
	v_pk_mul_f32 v[8:9], v[180:181], v[2:3] op_sel:[1,0]
	ds_read2st64_b64 v[4:7], v96 offset0:52 offset1:54
	v_pk_fma_f32 v[46:47], v[180:181], v[2:3], v[8:9] op_sel:[0,0,1] op_sel_hi:[1,1,0]
	v_pk_fma_f32 v[48:49], v[180:181], v[2:3], v[8:9] op_sel:[0,0,1] op_sel_hi:[0,1,0] neg_lo:[0,0,1] neg_hi:[0,0,1]
	v_pk_mul_f32 v[2:3], v[142:143], v[0:1] op_sel:[1,0]
	v_mov_b32_e32 v35, v37
	v_pk_fma_f32 v[50:51], v[142:143], v[0:1], v[2:3] op_sel:[0,0,1] op_sel_hi:[1,1,0]
	v_pk_fma_f32 v[52:53], v[142:143], v[0:1], v[2:3] op_sel:[0,0,1] op_sel_hi:[0,1,0] neg_lo:[0,0,1] neg_hi:[0,0,1]
	ds_read2st64_b64 v[0:3], v96 offset0:48 offset1:50
	s_waitcnt lgkmcnt(1)
	v_pk_mul_f32 v[8:9], v[160:161], v[6:7] op_sel:[1,0]
	v_mov_b32_e32 v39, v41
	v_pk_fma_f32 v[54:55], v[160:161], v[6:7], v[8:9] op_sel:[0,0,1] op_sel_hi:[1,1,0]
	v_pk_fma_f32 v[56:57], v[160:161], v[6:7], v[8:9] op_sel:[0,0,1] op_sel_hi:[0,1,0] neg_lo:[0,0,1] neg_hi:[0,0,1]
	v_pk_mul_f32 v[6:7], v[208:209], v[4:5] op_sel:[1,0]
	s_waitcnt lgkmcnt(0)
	v_pk_mul_f32 v[8:9], v[164:165], v[2:3] op_sel:[1,0]
	v_pk_fma_f32 v[58:59], v[208:209], v[4:5], v[6:7] op_sel:[0,0,1] op_sel_hi:[1,1,0]
	v_pk_fma_f32 v[60:61], v[208:209], v[4:5], v[6:7] op_sel:[0,0,1] op_sel_hi:[0,1,0] neg_lo:[0,0,1] neg_hi:[0,0,1]
	ds_read2st64_b64 v[4:7], v96 offset0:44 offset1:46
	v_pk_fma_f32 v[62:63], v[164:165], v[2:3], v[8:9] op_sel:[0,0,1] op_sel_hi:[1,1,0]
	v_pk_fma_f32 v[64:65], v[164:165], v[2:3], v[8:9] op_sel:[0,0,1] op_sel_hi:[0,1,0] neg_lo:[0,0,1] neg_hi:[0,0,1]
	v_pk_mul_f32 v[2:3], v[158:159], v[0:1] op_sel:[1,0]
	v_mov_b32_e32 v43, v45
	v_pk_fma_f32 v[66:67], v[158:159], v[0:1], v[2:3] op_sel:[0,0,1] op_sel_hi:[1,1,0]
	v_pk_fma_f32 v[68:69], v[158:159], v[0:1], v[2:3] op_sel:[0,0,1] op_sel_hi:[0,1,0] neg_lo:[0,0,1] neg_hi:[0,0,1]
	ds_read2st64_b64 v[0:3], v96 offset0:36 offset1:38
	s_waitcnt lgkmcnt(1)
	v_pk_mul_f32 v[8:9], v[168:169], v[6:7] op_sel:[1,0]
	v_mov_b32_e32 v67, v69
	v_pk_fma_f32 v[70:71], v[168:169], v[6:7], v[8:9] op_sel:[0,0,1] op_sel_hi:[1,1,0]
	v_pk_fma_f32 v[72:73], v[168:169], v[6:7], v[8:9] op_sel:[0,0,1] op_sel_hi:[0,1,0] neg_lo:[0,0,1] neg_hi:[0,0,1]
	v_pk_mul_f32 v[6:7], v[162:163], v[4:5] op_sel:[1,0]
	s_waitcnt lgkmcnt(0)
	v_pk_mul_f32 v[8:9], v[166:167], v[2:3] op_sel:[1,0]
	v_pk_fma_f32 v[74:75], v[162:163], v[4:5], v[6:7] op_sel:[0,0,1] op_sel_hi:[1,1,0]
	v_pk_fma_f32 v[76:77], v[162:163], v[4:5], v[6:7] op_sel:[0,0,1] op_sel_hi:[0,1,0] neg_lo:[0,0,1] neg_hi:[0,0,1]
	ds_read2st64_b64 v[4:7], v96 offset0:28 offset1:30
	v_pk_fma_f32 v[78:79], v[166:167], v[2:3], v[8:9] op_sel:[0,0,1] op_sel_hi:[1,1,0]
	v_pk_fma_f32 v[80:81], v[166:167], v[2:3], v[8:9] op_sel:[0,0,1] op_sel_hi:[0,1,0] neg_lo:[0,0,1] neg_hi:[0,0,1]
	v_pk_mul_f32 v[2:3], v[172:173], v[0:1] op_sel:[1,0]
	v_mov_b32_e32 v79, v81
	v_pk_fma_f32 v[82:83], v[172:173], v[0:1], v[2:3] op_sel:[0,0,1] op_sel_hi:[1,1,0]
	v_pk_fma_f32 v[84:85], v[172:173], v[0:1], v[2:3] op_sel:[0,0,1] op_sel_hi:[0,1,0] neg_lo:[0,0,1] neg_hi:[0,0,1]
	ds_read2st64_b64 v[0:3], v96 offset1:2
	ds_read2st64_b64 v[8:11], v96 offset0:4 offset1:6
	s_waitcnt lgkmcnt(2)
	v_pk_mul_f32 v[16:17], v[186:187], v[6:7] op_sel:[1,0]
	v_mov_b32_e32 v83, v85
	v_pk_fma_f32 v[18:19], v[186:187], v[6:7], v[16:17] op_sel:[0,0,1] op_sel_hi:[1,1,0]
	v_pk_fma_f32 v[6:7], v[186:187], v[6:7], v[16:17] op_sel:[0,0,1] op_sel_hi:[0,1,0] neg_lo:[0,0,1] neg_hi:[0,0,1]
	v_mov_b32_e32 v19, v7
	s_waitcnt lgkmcnt(0)
	v_pk_add_f32 v[86:87], v[8:9], v[12:13] neg_lo:[0,1] neg_hi:[0,1]
	v_pk_add_f32 v[6:7], v[0:1], v[18:19] neg_lo:[0,1] neg_hi:[0,1]
	v_pk_fma_f32 v[8:9], v[8:9], 2.0, v[86:87] op_sel_hi:[1,0,1] neg_lo:[0,0,1] neg_hi:[0,0,1]
	ds_read2st64_b64 v[12:15], v96 offset0:8 offset1:10
	ds_read2st64_b64 v[16:19], v96 offset0:12 offset1:14
	ds_read2st64_b64 v[20:23], v96 offset0:24 offset1:26
	ds_read2st64_b64 v[24:27], v96 offset0:20 offset1:22
	ds_read2st64_b64 v[28:31], v96 offset0:16 offset1:18
	s_waitcnt lgkmcnt(0)
	s_barrier
	ds_write2_b64 v33, v[8:9], v[6:7] offset1:224
	v_pk_fma_f32 v[0:1], v[0:1], 2.0, v[6:7] op_sel_hi:[1,0,1] neg_lo:[0,0,1] neg_hi:[0,0,1]
	v_pk_add_f32 v[6:7], v[2:3], v[34:35] neg_lo:[0,1] neg_hi:[0,1]
	v_accvgpr_read_b32 v33, a182
	v_pk_fma_f32 v[2:3], v[2:3], 2.0, v[6:7] op_sel_hi:[1,0,1] neg_lo:[0,0,1] neg_hi:[0,0,1]
	ds_write2st64_b64 v96, v[0:1], v[2:3] offset1:2
	v_pk_add_f32 v[0:1], v[10:11], v[82:83] neg_lo:[0,1] neg_hi:[0,1]
	ds_write2st64_b64 v33, v[6:7], v[86:87] offset0:9 offset1:11
	v_pk_fma_f32 v[2:3], v[10:11], 2.0, v[0:1] op_sel_hi:[1,0,1] neg_lo:[0,0,1] neg_hi:[0,0,1]
	v_accvgpr_read_b32 v6, a191
	ds_write_b64 v6, v[2:3]
	ds_write_b64 v6, v[0:1] offset:3840
	v_pk_add_f32 v[0:1], v[12:13], v[78:79] neg_lo:[0,1] neg_hi:[0,1]
	v_pk_add_f32 v[2:3], v[14:15], v[38:39] neg_lo:[0,1] neg_hi:[0,1]
	v_pk_fma_f32 v[6:7], v[12:13], 2.0, v[0:1] op_sel_hi:[1,0,1] neg_lo:[0,0,1] neg_hi:[0,0,1]
	v_pk_fma_f32 v[8:9], v[14:15], 2.0, v[2:3] op_sel_hi:[1,0,1] neg_lo:[0,0,1] neg_hi:[0,0,1]
	ds_write2st64_b64 v33, v[6:7], v[8:9] offset0:15 offset1:17
	v_pk_add_f32 v[6:7], v[16:17], v[42:43] neg_lo:[0,1] neg_hi:[0,1]
	v_accvgpr_read_b32 v10, a186
	v_pk_fma_f32 v[8:9], v[16:17], 2.0, v[6:7] op_sel_hi:[1,0,1] neg_lo:[0,0,1] neg_hi:[0,0,1]
	v_mov_b32_e32 v75, v77
	ds_write2_b64 v10, v[8:9], v[0:1] offset1:224
	ds_write2st64_b64 v96, v[2:3], v[6:7] offset0:25 offset1:27
	v_pk_add_f32 v[0:1], v[18:19], v[74:75] neg_lo:[0,1] neg_hi:[0,1]
	v_accvgpr_read_b32 v6, a192
	v_pk_fma_f32 v[2:3], v[18:19], 2.0, v[0:1] op_sel_hi:[1,0,1] neg_lo:[0,0,1] neg_hi:[0,0,1]
	v_mov_b32_e32 v71, v73
	ds_write_b64 v6, v[2:3]
	ds_write_b64 v6, v[0:1] offset:3840
	v_pk_add_f32 v[0:1], v[28:29], v[70:71] neg_lo:[0,1] neg_hi:[0,1]
	v_mov_b32_e32 v63, v65
	v_pk_add_f32 v[12:13], v[30:31], v[66:67] neg_lo:[0,1] neg_hi:[0,1]
	v_pk_fma_f32 v[2:3], v[28:29], 2.0, v[0:1] op_sel_hi:[1,0,1] neg_lo:[0,0,1] neg_hi:[0,0,1]
	v_mov_b32_e32 v59, v61
	v_pk_add_f32 v[10:11], v[24:25], v[62:63] neg_lo:[0,1] neg_hi:[0,1]
	v_pk_fma_f32 v[14:15], v[30:31], 2.0, v[12:13] op_sel_hi:[1,0,1] neg_lo:[0,0,1] neg_hi:[0,0,1]
	v_accvgpr_read_b32 v16, a184
	ds_write_b64 v97, v[2:3] offset:15360
	ds_write_b64 v97, v[0:1] offset:19200
	v_mov_b32_e32 v55, v57
	v_pk_add_f32 v[8:9], v[26:27], v[58:59] neg_lo:[0,1] neg_hi:[0,1]
	ds_write_b64 v16, v[14:15] offset:15360
	ds_write_b64 v16, v[12:13] offset:19200
	v_pk_fma_f32 v[12:13], v[24:25], 2.0, v[10:11] op_sel_hi:[1,0,1] neg_lo:[0,0,1] neg_hi:[0,0,1]
	v_accvgpr_read_b32 v14, a185
	v_mov_b32_e32 v51, v53
	v_pk_add_f32 v[6:7], v[20:21], v[54:55] neg_lo:[0,1] neg_hi:[0,1]
	ds_write_b64 v14, v[12:13] offset:15360
	ds_write_b64 v14, v[10:11] offset:19200
	v_pk_fma_f32 v[10:11], v[26:27], 2.0, v[8:9] op_sel_hi:[1,0,1] neg_lo:[0,0,1] neg_hi:[0,0,1]
	v_accvgpr_read_b32 v12, a187
	v_mov_b32_e32 v47, v49
	v_pk_add_f32 v[2:3], v[22:23], v[50:51] neg_lo:[0,1] neg_hi:[0,1]
	ds_write_b64 v12, v[10:11]
	ds_write_b64 v12, v[8:9] offset:3840
	v_pk_fma_f32 v[8:9], v[20:21], 2.0, v[6:7] op_sel_hi:[1,0,1] neg_lo:[0,0,1] neg_hi:[0,0,1]
	v_accvgpr_read_b32 v10, a188
	v_pk_add_f32 v[0:1], v[4:5], v[46:47] neg_lo:[0,1] neg_hi:[0,1]
	ds_write_b64 v10, v[8:9] offset:23040
	ds_write_b64 v10, v[6:7] offset:26880
	v_pk_fma_f32 v[6:7], v[22:23], 2.0, v[2:3] op_sel_hi:[1,0,1] neg_lo:[0,0,1] neg_hi:[0,0,1]
	v_accvgpr_read_b32 v8, a189
	ds_write_b64 v8, v[6:7] offset:23040
	ds_write_b64 v8, v[2:3] offset:26880
	v_pk_fma_f32 v[2:3], v[4:5], 2.0, v[0:1] op_sel_hi:[1,0,1] neg_lo:[0,0,1] neg_hi:[0,0,1]
	v_accvgpr_read_b32 v4, a190
	ds_write_b64 v4, v[2:3] offset:23040
	ds_write_b64 v4, v[0:1] offset:26880
	s_waitcnt lgkmcnt(0)
	s_barrier
	ds_read2st64_b64 v[0:3], v96 offset0:32 offset1:34
	ds_read2st64_b64 v[4:7], v96 offset0:36 offset1:38
	s_waitcnt lgkmcnt(1)
	v_pk_mul_f32 v[8:9], v[210:211], v[0:1] op_sel:[1,0]
	s_nop 0
	v_pk_fma_f32 v[12:13], v[210:211], v[0:1], v[8:9] op_sel:[0,0,1] op_sel_hi:[1,1,0]
	v_pk_fma_f32 v[14:15], v[210:211], v[0:1], v[8:9] op_sel:[0,0,1] op_sel_hi:[0,1,0] neg_lo:[0,0,1] neg_hi:[0,0,1]
	v_pk_mul_f32 v[0:1], v[188:189], v[2:3] op_sel:[1,0]
	s_waitcnt lgkmcnt(0)
	v_pk_mul_f32 v[8:9], v[144:145], v[4:5] op_sel:[1,0]
	v_pk_fma_f32 v[16:17], v[188:189], v[2:3], v[0:1] op_sel:[0,0,1] op_sel_hi:[1,1,0]
	v_pk_fma_f32 v[18:19], v[188:189], v[2:3], v[0:1] op_sel:[0,0,1] op_sel_hi:[0,1,0] neg_lo:[0,0,1] neg_hi:[0,0,1]
	ds_read2st64_b64 v[0:3], v96 offset0:40 offset1:42
	v_pk_fma_f32 v[20:21], v[144:145], v[4:5], v[8:9] op_sel:[0,0,1] op_sel_hi:[1,1,0]
	v_pk_fma_f32 v[22:23], v[144:145], v[4:5], v[8:9] op_sel:[0,0,1] op_sel_hi:[0,1,0] neg_lo:[0,0,1] neg_hi:[0,0,1]
	v_pk_mul_f32 v[4:5], v[136:137], v[6:7] op_sel:[1,0]
	ds_read2st64_b64 v[8:11], v96 offset0:52 offset1:54
	v_pk_fma_f32 v[24:25], v[136:137], v[6:7], v[4:5] op_sel:[0,0,1] op_sel_hi:[1,1,0]
	v_pk_fma_f32 v[26:27], v[136:137], v[6:7], v[4:5] op_sel:[0,0,1] op_sel_hi:[0,1,0] neg_lo:[0,0,1] neg_hi:[0,0,1]
	s_waitcnt lgkmcnt(1)
	v_pk_mul_f32 v[4:5], v[132:133], v[0:1] op_sel:[1,0]
	v_mov_b32_e32 v13, v15
	v_pk_fma_f32 v[28:29], v[132:133], v[0:1], v[4:5] op_sel:[0,0,1] op_sel_hi:[1,1,0]
	v_pk_fma_f32 v[30:31], v[132:133], v[0:1], v[4:5] op_sel:[0,0,1] op_sel_hi:[0,1,0] neg_lo:[0,0,1] neg_hi:[0,0,1]
	ds_read2st64_b64 v[4:7], v96 offset0:48 offset1:50
	v_pk_mul_f32 v[0:1], v[102:103], v[2:3] op_sel:[1,0]
	s_waitcnt lgkmcnt(1)
	v_pk_mul_f32 v[46:47], v[104:105], v[8:9] op_sel:[1,0]
	v_pk_fma_f32 v[34:35], v[102:103], v[2:3], v[0:1] op_sel:[0,0,1] op_sel_hi:[1,1,0]
	v_pk_fma_f32 v[36:37], v[102:103], v[2:3], v[0:1] op_sel:[0,0,1] op_sel_hi:[0,1,0] neg_lo:[0,0,1] neg_hi:[0,0,1]
	s_waitcnt lgkmcnt(0)
	v_pk_mul_f32 v[38:39], v[184:185], v[4:5] op_sel:[1,0]
	ds_read2st64_b64 v[0:3], v96 offset0:44 offset1:46
	v_pk_fma_f32 v[40:41], v[184:185], v[4:5], v[38:39] op_sel:[0,0,1] op_sel_hi:[1,1,0]
	v_pk_fma_f32 v[38:39], v[184:185], v[4:5], v[38:39] op_sel:[0,0,1] op_sel_hi:[0,1,0] neg_lo:[0,0,1] neg_hi:[0,0,1]
	v_pk_mul_f32 v[4:5], v[178:179], v[6:7] op_sel:[1,0]
	v_pk_fma_f32 v[48:49], v[104:105], v[8:9], v[46:47] op_sel:[0,0,1] op_sel_hi:[1,1,0]
	v_pk_fma_f32 v[42:43], v[178:179], v[6:7], v[4:5] op_sel:[0,0,1] op_sel_hi:[1,1,0]
	v_pk_fma_f32 v[44:45], v[178:179], v[6:7], v[4:5] op_sel:[0,0,1] op_sel_hi:[0,1,0] neg_lo:[0,0,1] neg_hi:[0,0,1]
	ds_read2st64_b64 v[4:7], v96 offset0:56 offset1:58
	v_pk_fma_f32 v[46:47], v[104:105], v[8:9], v[46:47] op_sel:[0,0,1] op_sel_hi:[0,1,0] neg_lo:[0,0,1] neg_hi:[0,0,1]
	v_pk_mul_f32 v[8:9], v[170:171], v[10:11] op_sel:[1,0]
	v_mov_b32_e32 v17, v19
	v_pk_fma_f32 v[50:51], v[170:171], v[10:11], v[8:9] op_sel:[0,0,1] op_sel_hi:[1,1,0]
	v_pk_fma_f32 v[10:11], v[170:171], v[10:11], v[8:9] op_sel:[0,0,1] op_sel_hi:[0,1,0] neg_lo:[0,0,1] neg_hi:[0,0,1]
	s_waitcnt lgkmcnt(0)
	v_pk_mul_f32 v[8:9], v[198:199], v[4:5] op_sel:[1,0]
	v_mov_b32_e32 v21, v23
	v_pk_fma_f32 v[52:53], v[198:199], v[4:5], v[8:9] op_sel:[0,0,1] op_sel_hi:[1,1,0]
	v_pk_fma_f32 v[54:55], v[198:199], v[4:5], v[8:9] op_sel:[0,0,1] op_sel_hi:[0,1,0] neg_lo:[0,0,1] neg_hi:[0,0,1]
	v_pk_mul_f32 v[4:5], v[114:115], v[6:7] op_sel:[1,0]
	v_pk_mul_f32 v[8:9], v[220:221], v[2:3] op_sel:[1,0]
	v_pk_fma_f32 v[56:57], v[114:115], v[6:7], v[4:5] op_sel:[0,0,1] op_sel_hi:[1,1,0]
	v_pk_fma_f32 v[58:59], v[114:115], v[6:7], v[4:5] op_sel:[0,0,1] op_sel_hi:[0,1,0] neg_lo:[0,0,1] neg_hi:[0,0,1]
	ds_read2st64_b64 v[4:7], v96 offset0:28 offset1:30
	v_pk_fma_f32 v[60:61], v[220:221], v[2:3], v[8:9] op_sel:[0,0,1] op_sel_hi:[1,1,0]
	v_pk_fma_f32 v[62:63], v[220:221], v[2:3], v[8:9] op_sel:[0,0,1] op_sel_hi:[0,1,0] neg_lo:[0,0,1] neg_hi:[0,0,1]
	v_pk_mul_f32 v[2:3], v[128:129], v[0:1] op_sel:[1,0]
	v_mov_b32_e32 v25, v27
	v_pk_fma_f32 v[64:65], v[128:129], v[0:1], v[2:3] op_sel:[0,0,1] op_sel_hi:[1,1,0]
	v_pk_fma_f32 v[66:67], v[128:129], v[0:1], v[2:3] op_sel:[0,0,1] op_sel_hi:[0,1,0] neg_lo:[0,0,1] neg_hi:[0,0,1]
	ds_read2st64_b64 v[0:3], v96 offset1:2
	s_waitcnt lgkmcnt(1)
	v_pk_mul_f32 v[8:9], v[110:111], v[6:7] op_sel:[1,0]
	v_mov_b32_e32 v29, v31
	v_pk_fma_f32 v[68:69], v[110:111], v[6:7], v[8:9] op_sel:[0,0,1] op_sel_hi:[1,1,0]
	v_pk_fma_f32 v[6:7], v[110:111], v[6:7], v[8:9] op_sel:[0,0,1] op_sel_hi:[0,1,0] neg_lo:[0,0,1] neg_hi:[0,0,1]
	v_mov_b32_e32 v69, v7
	s_waitcnt lgkmcnt(0)
	v_pk_add_f32 v[14:15], v[0:1], v[68:69] neg_lo:[0,1] neg_hi:[0,1]
	v_pk_add_f32 v[12:13], v[2:3], v[12:13] neg_lo:[0,1] neg_hi:[0,1]
	ds_read2st64_b64 v[6:9], v96 offset0:4 offset1:6
	v_pk_fma_f32 v[68:69], v[0:1], 2.0, v[14:15] op_sel_hi:[1,0,1] neg_lo:[0,0,1] neg_hi:[0,0,1]
	v_pk_fma_f32 v[70:71], v[2:3], 2.0, v[12:13] op_sel_hi:[1,0,1] neg_lo:[0,0,1] neg_hi:[0,0,1]
	ds_read2st64_b64 v[0:3], v96 offset0:8 offset1:10
	v_mov_b32_e32 v61, v63
	s_waitcnt lgkmcnt(1)
	v_pk_add_f32 v[16:17], v[6:7], v[16:17] neg_lo:[0,1] neg_hi:[0,1]
	v_pk_add_f32 v[18:19], v[8:9], v[20:21] neg_lo:[0,1] neg_hi:[0,1]
	v_pk_fma_f32 v[20:21], v[6:7], 2.0, v[16:17] op_sel_hi:[1,0,1] neg_lo:[0,0,1] neg_hi:[0,0,1]
	s_waitcnt lgkmcnt(0)
	v_pk_add_f32 v[24:25], v[0:1], v[24:25] neg_lo:[0,1] neg_hi:[0,1]
	v_pk_add_f32 v[26:27], v[2:3], v[28:29] neg_lo:[0,1] neg_hi:[0,1]
	v_pk_fma_f32 v[22:23], v[8:9], 2.0, v[18:19] op_sel_hi:[1,0,1] neg_lo:[0,0,1] neg_hi:[0,0,1]
	ds_read2st64_b64 v[6:9], v96 offset0:16 offset1:18
	v_pk_fma_f32 v[28:29], v[0:1], 2.0, v[24:25] op_sel_hi:[1,0,1] neg_lo:[0,0,1] neg_hi:[0,0,1]
	v_pk_fma_f32 v[30:31], v[2:3], 2.0, v[26:27] op_sel_hi:[1,0,1] neg_lo:[0,0,1] neg_hi:[0,0,1]
	ds_read2st64_b64 v[0:3], v96 offset0:20 offset1:22
	v_mov_b32_e32 v41, v39
	v_mov_b32_e32 v43, v45
	v_mov_b32_e32 v49, v47
	v_mov_b32_e32 v35, v37
	s_waitcnt lgkmcnt(1)
	v_pk_add_f32 v[36:37], v[6:7], v[60:61] neg_lo:[0,1] neg_hi:[0,1]
	v_pk_add_f32 v[40:41], v[8:9], v[40:41] neg_lo:[0,1] neg_hi:[0,1]
	s_waitcnt lgkmcnt(0)
	v_pk_add_f32 v[42:43], v[0:1], v[42:43] neg_lo:[0,1] neg_hi:[0,1]
	v_pk_add_f32 v[46:47], v[2:3], v[48:49] neg_lo:[0,1] neg_hi:[0,1]
	v_pk_fma_f32 v[38:39], v[6:7], 2.0, v[36:37] op_sel_hi:[1,0,1] neg_lo:[0,0,1] neg_hi:[0,0,1]
	v_pk_fma_f32 v[60:61], v[8:9], 2.0, v[40:41] op_sel_hi:[1,0,1] neg_lo:[0,0,1] neg_hi:[0,0,1]
	;; [unrolled: 1-line block ×3, first 2 shown]
	ds_read2st64_b64 v[6:9], v96 offset0:24 offset1:26
	v_pk_fma_f32 v[48:49], v[2:3], 2.0, v[46:47] op_sel_hi:[1,0,1] neg_lo:[0,0,1] neg_hi:[0,0,1]
	ds_read2st64_b64 v[0:3], v96 offset0:12 offset1:14
	v_mov_b32_e32 v51, v11
	v_mov_b32_e32 v53, v55
	;; [unrolled: 1-line block ×4, first 2 shown]
	s_waitcnt lgkmcnt(1)
	v_pk_add_f32 v[10:11], v[6:7], v[50:51] neg_lo:[0,1] neg_hi:[0,1]
	v_pk_add_f32 v[50:51], v[8:9], v[52:53] neg_lo:[0,1] neg_hi:[0,1]
	;; [unrolled: 1-line block ×3, first 2 shown]
	s_waitcnt lgkmcnt(0)
	v_pk_add_f32 v[34:35], v[0:1], v[34:35] neg_lo:[0,1] neg_hi:[0,1]
	v_pk_add_f32 v[56:57], v[2:3], v[64:65] neg_lo:[0,1] neg_hi:[0,1]
	v_pk_fma_f32 v[0:1], v[0:1], 2.0, v[34:35] op_sel_hi:[1,0,1] neg_lo:[0,0,1] neg_hi:[0,0,1]
	v_pk_fma_f32 v[2:3], v[2:3], 2.0, v[56:57] op_sel_hi:[1,0,1] neg_lo:[0,0,1] neg_hi:[0,0,1]
	;; [unrolled: 1-line block ×5, first 2 shown]
	s_barrier
	ds_write2st64_b64 v96, v[68:69], v[70:71] offset1:2
	ds_write2st64_b64 v96, v[12:13], v[16:17] offset0:17 offset1:19
	ds_write2st64_b64 v96, v[20:21], v[22:23] offset0:4 offset1:6
	;; [unrolled: 1-line block ×6, first 2 shown]
	ds_write2st64_b64 v203, v[2:3], v[56:57] offset1:15
	ds_write2st64_b64 v96, v[38:39], v[60:61] offset0:31 offset1:33
	ds_write2st64_b64 v96, v[40:41], v[42:43] offset0:48 offset1:50
	;; [unrolled: 1-line block ×7, first 2 shown]
	s_waitcnt lgkmcnt(0)
	s_barrier
	ds_read2st64_b64 v[0:3], v96 offset0:28 offset1:30
	ds_read2st64_b64 v[4:7], v96 offset1:2
	ds_read2st64_b64 v[8:11], v96 offset0:32 offset1:34
	v_accvgpr_read_b32 v20, a0
	v_mov_b32_e32 v54, s0
	s_waitcnt lgkmcnt(2)
	v_pk_mul_f32 v[12:13], v[138:139], v[2:3] op_sel:[1,0]
	v_mov_b32_e32 v55, s1
	v_pk_fma_f32 v[16:17], v[138:139], v[2:3], v[12:13] op_sel:[0,0,1] op_sel_hi:[1,1,0]
	v_pk_fma_f32 v[2:3], v[138:139], v[2:3], v[12:13] op_sel:[0,0,1] op_sel_hi:[0,1,0] neg_lo:[0,0,1] neg_hi:[0,0,1]
	v_mov_b32_e32 v17, v3
	s_waitcnt lgkmcnt(1)
	v_pk_add_f32 v[12:13], v[4:5], v[16:17] neg_lo:[0,1] neg_hi:[0,1]
	v_mad_u64_u32 v[14:15], s[0:1], s6, v20, 0
	v_pk_fma_f32 v[2:3], v[4:5], 2.0, v[12:13] op_sel_hi:[1,0,1] neg_lo:[0,0,1] neg_hi:[0,0,1]
	s_waitcnt lgkmcnt(0)
	v_pk_mul_f32 v[4:5], v[140:141], v[8:9] op_sel:[1,0]
	v_mov_b32_e32 v30, 0xffff9800
	v_pk_fma_f32 v[16:17], v[140:141], v[8:9], v[4:5] op_sel:[0,0,1] op_sel_hi:[1,1,0]
	v_pk_fma_f32 v[4:5], v[140:141], v[8:9], v[4:5] op_sel:[0,0,1] op_sel_hi:[0,1,0] neg_lo:[0,0,1] neg_hi:[0,0,1]
	v_mov_b32_e32 v17, v5
	v_pk_add_f32 v[16:17], v[6:7], v[16:17] neg_lo:[0,1] neg_hi:[0,1]
	s_nop 0
	v_pk_fma_f32 v[4:5], v[6:7], 2.0, v[16:17] op_sel_hi:[1,0,1] neg_lo:[0,0,1] neg_hi:[0,0,1]
	ds_write2st64_b64 v96, v[2:3], v[4:5] offset1:2
	ds_read2st64_b64 v[2:5], v96 offset0:4 offset1:6
	v_pk_mul_f32 v[6:7], v[146:147], v[10:11] op_sel:[1,0]
	s_nop 0
	v_pk_fma_f32 v[18:19], v[146:147], v[10:11], v[6:7] op_sel:[0,0,1] op_sel_hi:[1,1,0]
	v_pk_fma_f32 v[10:11], v[146:147], v[10:11], v[6:7] op_sel:[0,0,1] op_sel_hi:[0,1,0] neg_lo:[0,0,1] neg_hi:[0,0,1]
	ds_read2st64_b64 v[6:9], v96 offset0:36 offset1:38
	v_mov_b32_e32 v19, v11
	s_waitcnt lgkmcnt(1)
	v_pk_add_f32 v[10:11], v[2:3], v[18:19] neg_lo:[0,1] neg_hi:[0,1]
	ds_write2st64_b64 v96, v[16:17], v[10:11] offset0:32 offset1:34
	v_pk_fma_f32 v[2:3], v[2:3], 2.0, v[10:11] op_sel_hi:[1,0,1] neg_lo:[0,0,1] neg_hi:[0,0,1]
	s_waitcnt lgkmcnt(1)
	v_pk_mul_f32 v[10:11], v[156:157], v[6:7] op_sel:[1,0]
	s_nop 0
	v_pk_fma_f32 v[16:17], v[156:157], v[6:7], v[10:11] op_sel:[0,0,1] op_sel_hi:[1,1,0]
	v_pk_fma_f32 v[6:7], v[156:157], v[6:7], v[10:11] op_sel:[0,0,1] op_sel_hi:[0,1,0] neg_lo:[0,0,1] neg_hi:[0,0,1]
	v_mov_b32_e32 v17, v7
	v_pk_add_f32 v[10:11], v[4:5], v[16:17] neg_lo:[0,1] neg_hi:[0,1]
	v_pk_mul_f32 v[6:7], v[118:119], v[8:9] op_sel:[1,0]
	v_pk_fma_f32 v[4:5], v[4:5], 2.0, v[10:11] op_sel_hi:[1,0,1] neg_lo:[0,0,1] neg_hi:[0,0,1]
	ds_write2st64_b64 v96, v[2:3], v[4:5] offset0:4 offset1:6
	ds_read2st64_b64 v[2:5], v96 offset0:8 offset1:10
	v_pk_fma_f32 v[16:17], v[118:119], v[8:9], v[6:7] op_sel:[0,0,1] op_sel_hi:[1,1,0]
	v_pk_fma_f32 v[18:19], v[118:119], v[8:9], v[6:7] op_sel:[0,0,1] op_sel_hi:[0,1,0] neg_lo:[0,0,1] neg_hi:[0,0,1]
	ds_read2st64_b64 v[6:9], v96 offset0:40 offset1:42
	v_mov_b32_e32 v17, v19
	s_waitcnt lgkmcnt(1)
	v_pk_add_f32 v[16:17], v[2:3], v[16:17] neg_lo:[0,1] neg_hi:[0,1]
	ds_write2st64_b64 v96, v[10:11], v[16:17] offset0:36 offset1:38
	v_pk_fma_f32 v[2:3], v[2:3], 2.0, v[16:17] op_sel_hi:[1,0,1] neg_lo:[0,0,1] neg_hi:[0,0,1]
	s_waitcnt lgkmcnt(1)
	v_pk_mul_f32 v[10:11], v[124:125], v[6:7] op_sel:[1,0]
	s_nop 0
	v_pk_fma_f32 v[16:17], v[124:125], v[6:7], v[10:11] op_sel:[0,0,1] op_sel_hi:[1,1,0]
	v_pk_fma_f32 v[6:7], v[124:125], v[6:7], v[10:11] op_sel:[0,0,1] op_sel_hi:[0,1,0] neg_lo:[0,0,1] neg_hi:[0,0,1]
	v_mov_b32_e32 v17, v7
	v_pk_add_f32 v[10:11], v[4:5], v[16:17] neg_lo:[0,1] neg_hi:[0,1]
	v_pk_mul_f32 v[6:7], v[130:131], v[8:9] op_sel:[1,0]
	v_pk_fma_f32 v[4:5], v[4:5], 2.0, v[10:11] op_sel_hi:[1,0,1] neg_lo:[0,0,1] neg_hi:[0,0,1]
	ds_write2st64_b64 v96, v[2:3], v[4:5] offset0:8 offset1:10
	ds_read2st64_b64 v[2:5], v96 offset0:12 offset1:14
	;; [unrolled: 19-line block ×5, first 2 shown]
	v_pk_fma_f32 v[16:17], v[106:107], v[8:9], v[6:7] op_sel:[0,0,1] op_sel_hi:[1,1,0]
	v_pk_fma_f32 v[18:19], v[106:107], v[8:9], v[6:7] op_sel:[0,0,1] op_sel_hi:[0,1,0] neg_lo:[0,0,1] neg_hi:[0,0,1]
	ds_read2st64_b64 v[6:9], v96 offset0:56 offset1:58
	v_mov_b32_e32 v17, v19
	s_waitcnt lgkmcnt(1)
	v_pk_add_f32 v[16:17], v[2:3], v[16:17] neg_lo:[0,1] neg_hi:[0,1]
	ds_write2st64_b64 v96, v[10:11], v[16:17] offset0:52 offset1:54
	v_pk_fma_f32 v[2:3], v[2:3], 2.0, v[16:17] op_sel_hi:[1,0,1] neg_lo:[0,0,1] neg_hi:[0,0,1]
	s_waitcnt lgkmcnt(1)
	v_pk_mul_f32 v[10:11], v[112:113], v[6:7] op_sel:[1,0]
	s_nop 0
	v_pk_fma_f32 v[16:17], v[112:113], v[6:7], v[10:11] op_sel:[0,0,1] op_sel_hi:[1,1,0]
	v_pk_fma_f32 v[6:7], v[112:113], v[6:7], v[10:11] op_sel:[0,0,1] op_sel_hi:[0,1,0] neg_lo:[0,0,1] neg_hi:[0,0,1]
	v_mov_b32_e32 v17, v7
	v_pk_add_f32 v[6:7], v[4:5], v[16:17] neg_lo:[0,1] neg_hi:[0,1]
	s_nop 0
	v_pk_fma_f32 v[4:5], v[4:5], 2.0, v[6:7] op_sel_hi:[1,0,1] neg_lo:[0,0,1] neg_hi:[0,0,1]
	ds_write2st64_b64 v96, v[2:3], v[4:5] offset0:24 offset1:26
	v_pk_mul_f32 v[2:3], v[122:123], v[8:9] op_sel:[1,0]
	s_nop 0
	v_pk_fma_f32 v[4:5], v[122:123], v[8:9], v[2:3] op_sel:[0,0,1] op_sel_hi:[1,1,0]
	v_pk_fma_f32 v[2:3], v[122:123], v[8:9], v[2:3] op_sel:[0,0,1] op_sel_hi:[0,1,0] neg_lo:[0,0,1] neg_hi:[0,0,1]
	v_mov_b32_e32 v5, v3
	v_pk_add_f32 v[2:3], v[0:1], v[4:5] neg_lo:[0,1] neg_hi:[0,1]
	s_nop 0
	v_pk_fma_f32 v[0:1], v[0:1], 2.0, v[2:3] op_sel_hi:[1,0,1] neg_lo:[0,0,1] neg_hi:[0,0,1]
	ds_write2st64_b64 v96, v[0:1], v[12:13] offset0:28 offset1:30
	ds_write2st64_b64 v96, v[6:7], v[2:3] offset0:56 offset1:58
	s_waitcnt lgkmcnt(0)
	s_barrier
	ds_read2st64_b64 v[10:13], v96 offset1:2
	v_mov_b32_e32 v0, v15
	v_accvgpr_read_b32 v2, a60
	v_mad_u64_u32 v[0:1], s[0:1], s7, v20, v[0:1]
	v_accvgpr_read_b32 v3, a61
	v_mov_b32_e32 v15, v0
	s_waitcnt lgkmcnt(0)
	v_mul_f32_e32 v0, v3, v11
	v_fmac_f32_e32 v0, v2, v10
	s_mov_b32 s0, 0x11111111
	v_cvt_f64_f32_e32 v[0:1], v0
	s_mov_b32 s1, 0x3f311111
	v_mul_f64 v[0:1], v[0:1], s[0:1]
	v_cvt_f32_f64_e32 v4, v[0:1]
	v_mul_f32_e32 v0, v3, v10
	v_fma_f32 v0, v2, v11, -v0
	v_cvt_f64_f32_e32 v[0:1], v0
	v_mul_f64 v[0:1], v[0:1], s[0:1]
	v_mad_u64_u32 v[6:7], s[2:3], s4, v230, 0
	v_cvt_f32_f64_e32 v5, v[0:1]
	v_mov_b32_e32 v0, v7
	v_mad_u64_u32 v[8:9], s[2:3], s5, v230, v[0:1]
	ds_read2st64_b64 v[0:3], v96 offset0:4 offset1:6
	v_mov_b32_e32 v7, v8
	v_lshl_add_u64 v[8:9], v[14:15], 3, v[54:55]
	v_lshl_add_u64 v[6:7], v[6:7], 3, v[8:9]
	v_accvgpr_read_b32 v8, a58
	v_accvgpr_read_b32 v9, a59
	global_store_dwordx2 v[6:7], v[4:5], off
	s_waitcnt lgkmcnt(0)
	v_mul_f32_e32 v4, v9, v3
	v_fmac_f32_e32 v4, v8, v2
	v_mul_f32_e32 v2, v9, v2
	v_fma_f32 v2, v8, v3, -v2
	v_cvt_f64_f32_e32 v[4:5], v4
	v_cvt_f64_f32_e32 v[2:3], v2
	ds_read2st64_b64 v[14:17], v96 offset0:12 offset1:14
	v_mad_u64_u32 v[6:7], s[2:3], s4, v32, v[6:7]
	v_mul_f64 v[4:5], v[4:5], s[0:1]
	v_mul_f64 v[2:3], v[2:3], s[0:1]
	s_mul_i32 s2, s5, 0xc00
	v_cvt_f32_f64_e32 v4, v[4:5]
	v_cvt_f32_f64_e32 v5, v[2:3]
	v_add_u32_e32 v7, s2, v7
	global_store_dwordx2 v[6:7], v[4:5], off
	v_accvgpr_read_b32 v4, a56
	v_accvgpr_read_b32 v5, a57
	s_waitcnt lgkmcnt(0)
	v_mul_f32_e32 v2, v5, v15
	v_fmac_f32_e32 v2, v4, v14
	v_cvt_f64_f32_e32 v[2:3], v2
	v_mul_f64 v[2:3], v[2:3], s[0:1]
	v_cvt_f32_f64_e32 v8, v[2:3]
	v_mul_f32_e32 v2, v5, v14
	v_fma_f32 v2, v4, v15, -v2
	v_cvt_f64_f32_e32 v[2:3], v2
	v_mul_f64 v[2:3], v[2:3], s[0:1]
	v_cvt_f32_f64_e32 v9, v[2:3]
	ds_read2st64_b64 v[2:5], v96 offset0:16 offset1:18
	v_mad_u64_u32 v[6:7], s[6:7], s4, v32, v[6:7]
	v_accvgpr_read_b32 v10, a54
	v_add_u32_e32 v7, s2, v7
	v_accvgpr_read_b32 v11, a55
	global_store_dwordx2 v[6:7], v[8:9], off
	s_waitcnt lgkmcnt(0)
	v_mul_f32_e32 v8, v11, v5
	ds_read2st64_b64 v[18:21], v96 offset0:24 offset1:26
	v_fmac_f32_e32 v8, v10, v4
	v_mul_f32_e32 v4, v11, v4
	v_fma_f32 v4, v10, v5, -v4
	v_cvt_f64_f32_e32 v[8:9], v8
	v_cvt_f64_f32_e32 v[4:5], v4
	v_mad_u64_u32 v[10:11], s[6:7], s4, v32, v[6:7]
	v_accvgpr_read_b32 v6, a48
	v_mul_f64 v[8:9], v[8:9], s[0:1]
	v_mul_f64 v[4:5], v[4:5], s[0:1]
	v_accvgpr_read_b32 v7, a49
	v_cvt_f32_f64_e32 v8, v[8:9]
	v_cvt_f32_f64_e32 v9, v[4:5]
	s_waitcnt lgkmcnt(0)
	v_mul_f32_e32 v4, v7, v19
	v_fmac_f32_e32 v4, v6, v18
	v_cvt_f64_f32_e32 v[4:5], v4
	v_add_u32_e32 v11, s2, v11
	v_mul_f64 v[4:5], v[4:5], s[0:1]
	global_store_dwordx2 v[10:11], v[8:9], off
	v_cvt_f32_f64_e32 v8, v[4:5]
	v_mul_f32_e32 v4, v7, v18
	v_fma_f32 v4, v6, v19, -v4
	v_cvt_f64_f32_e32 v[4:5], v4
	v_mul_f64 v[4:5], v[4:5], s[0:1]
	v_cvt_f32_f64_e32 v9, v[4:5]
	ds_read2st64_b64 v[4:7], v96 offset0:28 offset1:30
	v_mad_u64_u32 v[10:11], s[6:7], s4, v32, v[10:11]
	v_accvgpr_read_b32 v14, a44
	v_add_u32_e32 v11, s2, v11
	v_accvgpr_read_b32 v15, a45
	global_store_dwordx2 v[10:11], v[8:9], off
	s_waitcnt lgkmcnt(0)
	v_mul_f32_e32 v8, v15, v7
	v_fmac_f32_e32 v8, v14, v6
	v_mul_f32_e32 v6, v15, v6
	v_fma_f32 v6, v14, v7, -v6
	v_cvt_f64_f32_e32 v[8:9], v8
	v_cvt_f64_f32_e32 v[6:7], v6
	ds_read2st64_b64 v[22:25], v96 offset0:36 offset1:38
	v_mul_f64 v[8:9], v[8:9], s[0:1]
	v_mul_f64 v[6:7], v[6:7], s[0:1]
	v_mad_u64_u32 v[10:11], s[6:7], s4, v32, v[10:11]
	v_cvt_f32_f64_e32 v8, v[8:9]
	v_cvt_f32_f64_e32 v9, v[6:7]
	v_add_u32_e32 v11, s2, v11
	global_store_dwordx2 v[10:11], v[8:9], off
	v_accvgpr_read_b32 v8, a40
	v_accvgpr_read_b32 v9, a41
	s_waitcnt lgkmcnt(0)
	v_mul_f32_e32 v6, v9, v23
	v_fmac_f32_e32 v6, v8, v22
	v_cvt_f64_f32_e32 v[6:7], v6
	v_mul_f64 v[6:7], v[6:7], s[0:1]
	v_cvt_f32_f64_e32 v14, v[6:7]
	v_mul_f32_e32 v6, v9, v22
	v_fma_f32 v6, v8, v23, -v6
	v_cvt_f64_f32_e32 v[6:7], v6
	v_mul_f64 v[6:7], v[6:7], s[0:1]
	v_cvt_f32_f64_e32 v15, v[6:7]
	ds_read2st64_b64 v[6:9], v96 offset0:40 offset1:42
	v_mad_u64_u32 v[10:11], s[6:7], s4, v32, v[10:11]
	v_accvgpr_read_b32 v18, a36
	v_add_u32_e32 v11, s2, v11
	v_accvgpr_read_b32 v19, a37
	global_store_dwordx2 v[10:11], v[14:15], off
	s_waitcnt lgkmcnt(0)
	v_mul_f32_e32 v14, v19, v9
	ds_read2st64_b64 v[26:29], v96 offset0:48 offset1:50
	v_fmac_f32_e32 v14, v18, v8
	v_mul_f32_e32 v8, v19, v8
	v_fma_f32 v8, v18, v9, -v8
	v_cvt_f64_f32_e32 v[14:15], v14
	v_cvt_f64_f32_e32 v[8:9], v8
	v_mad_u64_u32 v[18:19], s[6:7], s4, v32, v[10:11]
	v_accvgpr_read_b32 v10, a32
	v_mul_f64 v[14:15], v[14:15], s[0:1]
	v_mul_f64 v[8:9], v[8:9], s[0:1]
	v_accvgpr_read_b32 v11, a33
	v_cvt_f32_f64_e32 v14, v[14:15]
	v_cvt_f32_f64_e32 v15, v[8:9]
	s_waitcnt lgkmcnt(0)
	v_mul_f32_e32 v8, v11, v27
	v_fmac_f32_e32 v8, v10, v26
	v_cvt_f64_f32_e32 v[8:9], v8
	v_add_u32_e32 v19, s2, v19
	v_mul_f64 v[8:9], v[8:9], s[0:1]
	global_store_dwordx2 v[18:19], v[14:15], off
	v_cvt_f32_f64_e32 v14, v[8:9]
	v_mul_f32_e32 v8, v11, v26
	v_fma_f32 v8, v10, v27, -v8
	v_cvt_f64_f32_e32 v[8:9], v8
	v_mul_f64 v[8:9], v[8:9], s[0:1]
	v_cvt_f32_f64_e32 v15, v[8:9]
	ds_read2st64_b64 v[8:11], v96 offset0:52 offset1:54
	v_mad_u64_u32 v[18:19], s[6:7], s4, v32, v[18:19]
	v_accvgpr_read_b32 v22, a26
	v_add_u32_e32 v19, s2, v19
	v_accvgpr_read_b32 v23, a27
	global_store_dwordx2 v[18:19], v[14:15], off
	s_waitcnt lgkmcnt(0)
	v_mul_f32_e32 v14, v23, v11
	v_fmac_f32_e32 v14, v22, v10
	v_mul_f32_e32 v10, v23, v10
	v_fma_f32 v10, v22, v11, -v10
	v_cvt_f64_f32_e32 v[14:15], v14
	v_cvt_f64_f32_e32 v[10:11], v10
	v_mul_f64 v[14:15], v[14:15], s[0:1]
	v_mul_f64 v[10:11], v[10:11], s[0:1]
	v_cvt_f32_f64_e32 v14, v[14:15]
	v_cvt_f32_f64_e32 v15, v[10:11]
	v_mad_u64_u32 v[10:11], s[6:7], s4, v32, v[18:19]
	v_accvgpr_read_b32 v18, a22
	v_add_u32_e32 v11, s2, v11
	v_accvgpr_read_b32 v19, a23
	global_store_dwordx2 v[10:11], v[14:15], off
	v_mul_f32_e32 v14, v19, v13
	v_fmac_f32_e32 v14, v18, v12
	v_mul_f32_e32 v12, v19, v12
	v_fma_f32 v12, v18, v13, -v12
	v_cvt_f64_f32_e32 v[14:15], v14
	v_cvt_f64_f32_e32 v[12:13], v12
	v_mul_f64 v[14:15], v[14:15], s[0:1]
	v_mul_f64 v[12:13], v[12:13], s[0:1]
	v_cvt_f32_f64_e32 v14, v[14:15]
	v_cvt_f32_f64_e32 v15, v[12:13]
	v_mad_u64_u32 v[18:19], s[6:7], s4, v30, v[10:11]
	ds_read2st64_b64 v[10:13], v96 offset0:8 offset1:10
	s_mul_i32 s3, s5, 0xffff9800
	s_sub_i32 s3, s3, s4
	v_add_u32_e32 v19, s3, v19
	v_accvgpr_read_b32 v23, a19
	global_store_dwordx2 v[18:19], v[14:15], off
	v_accvgpr_read_b32 v22, a18
	s_waitcnt lgkmcnt(0)
	v_mul_f32_e32 v14, v23, v11
	v_fmac_f32_e32 v14, v22, v10
	v_mul_f32_e32 v10, v23, v10
	v_fma_f32 v10, v22, v11, -v10
	v_cvt_f64_f32_e32 v[14:15], v14
	v_cvt_f64_f32_e32 v[10:11], v10
	v_mul_f64 v[14:15], v[14:15], s[0:1]
	v_mul_f64 v[10:11], v[10:11], s[0:1]
	v_cvt_f32_f64_e32 v14, v[14:15]
	v_cvt_f32_f64_e32 v15, v[10:11]
	v_mad_u64_u32 v[10:11], s[6:7], s4, v32, v[18:19]
	v_add_u32_e32 v11, s2, v11
	v_accvgpr_read_b32 v23, a15
	global_store_dwordx2 v[10:11], v[14:15], off
	v_accvgpr_read_b32 v22, a14
	v_mul_f32_e32 v14, v23, v17
	v_fmac_f32_e32 v14, v22, v16
	v_cvt_f64_f32_e32 v[14:15], v14
	v_mul_f64 v[14:15], v[14:15], s[0:1]
	v_cvt_f32_f64_e32 v18, v[14:15]
	v_mul_f32_e32 v14, v23, v16
	v_fma_f32 v14, v22, v17, -v14
	v_cvt_f64_f32_e32 v[14:15], v14
	v_mul_f64 v[14:15], v[14:15], s[0:1]
	v_cvt_f32_f64_e32 v19, v[14:15]
	ds_read2st64_b64 v[14:17], v96 offset0:20 offset1:22
	v_mad_u64_u32 v[10:11], s[6:7], s4, v32, v[10:11]
	v_accvgpr_read_b32 v22, a52
	v_add_u32_e32 v11, s2, v11
	v_accvgpr_read_b32 v23, a53
	global_store_dwordx2 v[10:11], v[18:19], off
	s_waitcnt lgkmcnt(0)
	v_mul_f32_e32 v18, v23, v15
	v_fmac_f32_e32 v18, v22, v14
	v_mul_f32_e32 v14, v23, v14
	v_fma_f32 v14, v22, v15, -v14
	v_cvt_f64_f32_e32 v[18:19], v18
	v_cvt_f64_f32_e32 v[14:15], v14
	v_mul_f64 v[18:19], v[18:19], s[0:1]
	v_mul_f64 v[14:15], v[14:15], s[0:1]
	v_mad_u64_u32 v[10:11], s[6:7], s4, v32, v[10:11]
	v_cvt_f32_f64_e32 v18, v[18:19]
	v_cvt_f32_f64_e32 v19, v[14:15]
	v_add_u32_e32 v11, s2, v11
	global_store_dwordx2 v[10:11], v[18:19], off
	v_accvgpr_read_b32 v18, a50
	v_accvgpr_read_b32 v19, a51
	v_mul_f32_e32 v14, v19, v21
	v_fmac_f32_e32 v14, v18, v20
	v_cvt_f64_f32_e32 v[14:15], v14
	v_mul_f64 v[14:15], v[14:15], s[0:1]
	v_cvt_f32_f64_e32 v14, v[14:15]
	v_mul_f32_e32 v15, v19, v20
	v_fma_f32 v15, v18, v21, -v15
	v_cvt_f64_f32_e32 v[18:19], v15
	v_mul_f64 v[18:19], v[18:19], s[0:1]
	v_cvt_f32_f64_e32 v15, v[18:19]
	ds_read2st64_b64 v[18:21], v96 offset0:32 offset1:34
	v_mad_u64_u32 v[10:11], s[6:7], s4, v32, v[10:11]
	v_accvgpr_read_b32 v22, a46
	v_add_u32_e32 v11, s2, v11
	v_accvgpr_read_b32 v23, a47
	global_store_dwordx2 v[10:11], v[14:15], off
	s_waitcnt lgkmcnt(0)
	v_mul_f32_e32 v14, v23, v19
	v_fmac_f32_e32 v14, v22, v18
	v_cvt_f64_f32_e32 v[14:15], v14
	v_mul_f64 v[14:15], v[14:15], s[0:1]
	v_cvt_f32_f64_e32 v14, v[14:15]
	v_mul_f32_e32 v15, v23, v18
	v_fma_f32 v15, v22, v19, -v15
	v_cvt_f64_f32_e32 v[18:19], v15
	v_mul_f64 v[18:19], v[18:19], s[0:1]
	v_cvt_f32_f64_e32 v15, v[18:19]
	v_mad_u64_u32 v[10:11], s[6:7], s4, v32, v[10:11]
	v_accvgpr_read_b32 v18, a42
	v_add_u32_e32 v11, s2, v11
	v_accvgpr_read_b32 v19, a43
	global_store_dwordx2 v[10:11], v[14:15], off
	v_mul_f32_e32 v14, v19, v25
	v_fmac_f32_e32 v14, v18, v24
	v_cvt_f64_f32_e32 v[14:15], v14
	v_mul_f64 v[14:15], v[14:15], s[0:1]
	v_cvt_f32_f64_e32 v14, v[14:15]
	v_mul_f32_e32 v15, v19, v24
	v_fma_f32 v15, v18, v25, -v15
	ds_read2st64_b64 v[22:25], v96 offset0:44 offset1:46
	v_cvt_f64_f32_e32 v[18:19], v15
	v_mul_f64 v[18:19], v[18:19], s[0:1]
	v_cvt_f32_f64_e32 v15, v[18:19]
	v_mad_u64_u32 v[10:11], s[6:7], s4, v32, v[10:11]
	v_accvgpr_read_b32 v18, a38
	v_add_u32_e32 v11, s2, v11
	v_accvgpr_read_b32 v19, a39
	global_store_dwordx2 v[10:11], v[14:15], off
	s_waitcnt lgkmcnt(0)
	v_mul_f32_e32 v14, v19, v23
	v_fmac_f32_e32 v14, v18, v22
	v_cvt_f64_f32_e32 v[14:15], v14
	v_mul_f64 v[14:15], v[14:15], s[0:1]
	v_cvt_f32_f64_e32 v14, v[14:15]
	v_mul_f32_e32 v15, v19, v22
	v_fma_f32 v15, v18, v23, -v15
	v_cvt_f64_f32_e32 v[18:19], v15
	v_mul_f64 v[18:19], v[18:19], s[0:1]
	v_cvt_f32_f64_e32 v15, v[18:19]
	v_mad_u64_u32 v[10:11], s[6:7], s4, v32, v[10:11]
	v_accvgpr_read_b32 v18, a34
	v_add_u32_e32 v11, s2, v11
	v_accvgpr_read_b32 v19, a35
	global_store_dwordx2 v[10:11], v[14:15], off
	v_mul_f32_e32 v14, v19, v29
	v_fmac_f32_e32 v14, v18, v28
	v_cvt_f64_f32_e32 v[14:15], v14
	v_mul_f64 v[14:15], v[14:15], s[0:1]
	v_cvt_f32_f64_e32 v14, v[14:15]
	v_mul_f32_e32 v15, v19, v28
	v_fma_f32 v15, v18, v29, -v15
	ds_read2st64_b64 v[26:29], v96 offset0:56 offset1:58
	v_cvt_f64_f32_e32 v[18:19], v15
	v_mul_f64 v[18:19], v[18:19], s[0:1]
	v_cvt_f32_f64_e32 v15, v[18:19]
	v_mad_u64_u32 v[10:11], s[6:7], s4, v32, v[10:11]
	v_accvgpr_read_b32 v18, a30
	v_add_u32_e32 v11, s2, v11
	v_accvgpr_read_b32 v19, a31
	global_store_dwordx2 v[10:11], v[14:15], off
	s_waitcnt lgkmcnt(0)
	v_mul_f32_e32 v14, v19, v27
	v_fmac_f32_e32 v14, v18, v26
	v_cvt_f64_f32_e32 v[14:15], v14
	v_mul_f64 v[14:15], v[14:15], s[0:1]
	v_cvt_f32_f64_e32 v14, v[14:15]
	v_mul_f32_e32 v15, v19, v26
	v_fma_f32 v15, v18, v27, -v15
	v_cvt_f64_f32_e32 v[18:19], v15
	v_mul_f64 v[18:19], v[18:19], s[0:1]
	v_cvt_f32_f64_e32 v15, v[18:19]
	v_mad_u64_u32 v[10:11], s[6:7], s4, v32, v[10:11]
	v_accvgpr_read_b32 v18, a28
	v_add_u32_e32 v11, s2, v11
	v_accvgpr_read_b32 v19, a29
	global_store_dwordx2 v[10:11], v[14:15], off
	v_mul_f32_e32 v14, v19, v1
	v_fmac_f32_e32 v14, v18, v0
	v_mul_f32_e32 v0, v19, v0
	v_fma_f32 v0, v18, v1, -v0
	v_cvt_f64_f32_e32 v[14:15], v14
	v_cvt_f64_f32_e32 v[0:1], v0
	v_mul_f64 v[14:15], v[14:15], s[0:1]
	v_mul_f64 v[0:1], v[0:1], s[0:1]
	v_cvt_f32_f64_e32 v14, v[14:15]
	v_cvt_f32_f64_e32 v15, v[0:1]
	v_mad_u64_u32 v[0:1], s[6:7], s4, v30, v[10:11]
	v_add_u32_e32 v1, s3, v1
	global_store_dwordx2 v[0:1], v[14:15], off
	v_accvgpr_read_b32 v14, a24
	v_accvgpr_read_b32 v15, a25
	v_mul_f32_e32 v10, v15, v13
	v_fmac_f32_e32 v10, v14, v12
	v_cvt_f64_f32_e32 v[10:11], v10
	v_mul_f64 v[10:11], v[10:11], s[0:1]
	v_cvt_f32_f64_e32 v10, v[10:11]
	v_mul_f32_e32 v11, v15, v12
	v_fma_f32 v11, v14, v13, -v11
	v_cvt_f64_f32_e32 v[12:13], v11
	v_mul_f64 v[12:13], v[12:13], s[0:1]
	v_cvt_f32_f64_e32 v11, v[12:13]
	v_mad_u64_u32 v[0:1], s[6:7], s4, v32, v[0:1]
	v_accvgpr_read_b32 v12, a20
	v_add_u32_e32 v1, s2, v1
	v_accvgpr_read_b32 v13, a21
	global_store_dwordx2 v[0:1], v[10:11], off
	v_mul_f32_e32 v10, v13, v3
	v_fmac_f32_e32 v10, v12, v2
	v_mul_f32_e32 v2, v13, v2
	v_fma_f32 v2, v12, v3, -v2
	v_cvt_f64_f32_e32 v[10:11], v10
	v_cvt_f64_f32_e32 v[2:3], v2
	v_mul_f64 v[10:11], v[10:11], s[0:1]
	v_mul_f64 v[2:3], v[2:3], s[0:1]
	v_mad_u64_u32 v[0:1], s[6:7], s4, v32, v[0:1]
	v_cvt_f32_f64_e32 v10, v[10:11]
	v_cvt_f32_f64_e32 v11, v[2:3]
	v_add_u32_e32 v1, s2, v1
	global_store_dwordx2 v[0:1], v[10:11], off
	v_accvgpr_read_b32 v10, a16
	v_accvgpr_read_b32 v11, a17
	v_mul_f32_e32 v2, v11, v17
	v_fmac_f32_e32 v2, v10, v16
	v_cvt_f64_f32_e32 v[2:3], v2
	v_mul_f64 v[2:3], v[2:3], s[0:1]
	v_cvt_f32_f64_e32 v2, v[2:3]
	v_mul_f32_e32 v3, v11, v16
	v_fma_f32 v3, v10, v17, -v3
	v_cvt_f64_f32_e32 v[10:11], v3
	v_mul_f64 v[10:11], v[10:11], s[0:1]
	v_cvt_f32_f64_e32 v3, v[10:11]
	v_mad_u64_u32 v[0:1], s[6:7], s4, v32, v[0:1]
	v_accvgpr_read_b32 v10, a12
	v_add_u32_e32 v1, s2, v1
	v_accvgpr_read_b32 v11, a13
	global_store_dwordx2 v[0:1], v[2:3], off
	v_mul_f32_e32 v2, v11, v5
	v_fmac_f32_e32 v2, v10, v4
	v_cvt_f64_f32_e32 v[2:3], v2
	v_mul_f64 v[2:3], v[2:3], s[0:1]
	v_cvt_f32_f64_e32 v2, v[2:3]
	v_mul_f32_e32 v3, v11, v4
	v_fma_f32 v3, v10, v5, -v3
	v_cvt_f64_f32_e32 v[4:5], v3
	v_mul_f64 v[4:5], v[4:5], s[0:1]
	v_cvt_f32_f64_e32 v3, v[4:5]
	v_mad_u64_u32 v[0:1], s[6:7], s4, v32, v[0:1]
	v_accvgpr_read_b32 v4, a10
	v_add_u32_e32 v1, s2, v1
	v_accvgpr_read_b32 v5, a11
	global_store_dwordx2 v[0:1], v[2:3], off
	;; [unrolled: 15-line block ×5, first 2 shown]
	v_mul_f32_e32 v2, v5, v9
	v_fmac_f32_e32 v2, v4, v8
	v_cvt_f64_f32_e32 v[2:3], v2
	v_mul_f64 v[2:3], v[2:3], s[0:1]
	v_cvt_f32_f64_e32 v2, v[2:3]
	v_mul_f32_e32 v3, v5, v8
	v_fma_f32 v3, v4, v9, -v3
	v_cvt_f64_f32_e32 v[4:5], v3
	v_mul_f64 v[4:5], v[4:5], s[0:1]
	v_mad_u64_u32 v[0:1], s[6:7], s4, v32, v[0:1]
	v_cvt_f32_f64_e32 v3, v[4:5]
	v_add_u32_e32 v1, s2, v1
	v_accvgpr_read_b32 v5, a3
	global_store_dwordx2 v[0:1], v[2:3], off
	v_accvgpr_read_b32 v4, a2
	v_mul_f32_e32 v2, v5, v29
	v_fmac_f32_e32 v2, v4, v28
	v_cvt_f64_f32_e32 v[2:3], v2
	v_mul_f64 v[2:3], v[2:3], s[0:1]
	v_cvt_f32_f64_e32 v2, v[2:3]
	v_mul_f32_e32 v3, v5, v28
	v_fma_f32 v3, v4, v29, -v3
	v_cvt_f64_f32_e32 v[4:5], v3
	v_mul_f64 v[4:5], v[4:5], s[0:1]
	v_mad_u64_u32 v[0:1], s[0:1], s4, v32, v[0:1]
	v_cvt_f32_f64_e32 v3, v[4:5]
	v_add_u32_e32 v1, s2, v1
	global_store_dwordx2 v[0:1], v[2:3], off
.LBB0_2:
	s_endpgm
	.section	.rodata,"a",@progbits
	.p2align	6, 0x0
	.amdhsa_kernel bluestein_single_back_len3840_dim1_sp_op_CI_CI
		.amdhsa_group_segment_fixed_size 30720
		.amdhsa_private_segment_fixed_size 0
		.amdhsa_kernarg_size 104
		.amdhsa_user_sgpr_count 2
		.amdhsa_user_sgpr_dispatch_ptr 0
		.amdhsa_user_sgpr_queue_ptr 0
		.amdhsa_user_sgpr_kernarg_segment_ptr 1
		.amdhsa_user_sgpr_dispatch_id 0
		.amdhsa_user_sgpr_kernarg_preload_length 0
		.amdhsa_user_sgpr_kernarg_preload_offset 0
		.amdhsa_user_sgpr_private_segment_size 0
		.amdhsa_uses_dynamic_stack 0
		.amdhsa_enable_private_segment 0
		.amdhsa_system_sgpr_workgroup_id_x 1
		.amdhsa_system_sgpr_workgroup_id_y 0
		.amdhsa_system_sgpr_workgroup_id_z 0
		.amdhsa_system_sgpr_workgroup_info 0
		.amdhsa_system_vgpr_workitem_id 0
		.amdhsa_next_free_vgpr 449
		.amdhsa_next_free_sgpr 22
		.amdhsa_accum_offset 256
		.amdhsa_reserve_vcc 1
		.amdhsa_float_round_mode_32 0
		.amdhsa_float_round_mode_16_64 0
		.amdhsa_float_denorm_mode_32 3
		.amdhsa_float_denorm_mode_16_64 3
		.amdhsa_dx10_clamp 1
		.amdhsa_ieee_mode 1
		.amdhsa_fp16_overflow 0
		.amdhsa_tg_split 0
		.amdhsa_exception_fp_ieee_invalid_op 0
		.amdhsa_exception_fp_denorm_src 0
		.amdhsa_exception_fp_ieee_div_zero 0
		.amdhsa_exception_fp_ieee_overflow 0
		.amdhsa_exception_fp_ieee_underflow 0
		.amdhsa_exception_fp_ieee_inexact 0
		.amdhsa_exception_int_div_zero 0
	.end_amdhsa_kernel
	.text
.Lfunc_end0:
	.size	bluestein_single_back_len3840_dim1_sp_op_CI_CI, .Lfunc_end0-bluestein_single_back_len3840_dim1_sp_op_CI_CI
                                        ; -- End function
	.section	.AMDGPU.csdata,"",@progbits
; Kernel info:
; codeLenInByte = 34324
; NumSgprs: 28
; NumVgprs: 256
; NumAgprs: 193
; TotalNumVgprs: 449
; ScratchSize: 0
; MemoryBound: 0
; FloatMode: 240
; IeeeMode: 1
; LDSByteSize: 30720 bytes/workgroup (compile time only)
; SGPRBlocks: 3
; VGPRBlocks: 56
; NumSGPRsForWavesPerEU: 28
; NumVGPRsForWavesPerEU: 449
; AccumOffset: 256
; Occupancy: 1
; WaveLimiterHint : 1
; COMPUTE_PGM_RSRC2:SCRATCH_EN: 0
; COMPUTE_PGM_RSRC2:USER_SGPR: 2
; COMPUTE_PGM_RSRC2:TRAP_HANDLER: 0
; COMPUTE_PGM_RSRC2:TGID_X_EN: 1
; COMPUTE_PGM_RSRC2:TGID_Y_EN: 0
; COMPUTE_PGM_RSRC2:TGID_Z_EN: 0
; COMPUTE_PGM_RSRC2:TIDIG_COMP_CNT: 0
; COMPUTE_PGM_RSRC3_GFX90A:ACCUM_OFFSET: 63
; COMPUTE_PGM_RSRC3_GFX90A:TG_SPLIT: 0
	.text
	.p2alignl 6, 3212836864
	.fill 256, 4, 3212836864
	.type	__hip_cuid_d005df55088ad1a4,@object ; @__hip_cuid_d005df55088ad1a4
	.section	.bss,"aw",@nobits
	.globl	__hip_cuid_d005df55088ad1a4
__hip_cuid_d005df55088ad1a4:
	.byte	0                               ; 0x0
	.size	__hip_cuid_d005df55088ad1a4, 1

	.ident	"AMD clang version 19.0.0git (https://github.com/RadeonOpenCompute/llvm-project roc-6.4.0 25133 c7fe45cf4b819c5991fe208aaa96edf142730f1d)"
	.section	".note.GNU-stack","",@progbits
	.addrsig
	.addrsig_sym __hip_cuid_d005df55088ad1a4
	.amdgpu_metadata
---
amdhsa.kernels:
  - .agpr_count:     193
    .args:
      - .actual_access:  read_only
        .address_space:  global
        .offset:         0
        .size:           8
        .value_kind:     global_buffer
      - .actual_access:  read_only
        .address_space:  global
        .offset:         8
        .size:           8
        .value_kind:     global_buffer
      - .actual_access:  read_only
        .address_space:  global
        .offset:         16
        .size:           8
        .value_kind:     global_buffer
      - .actual_access:  read_only
        .address_space:  global
        .offset:         24
        .size:           8
        .value_kind:     global_buffer
      - .actual_access:  read_only
        .address_space:  global
        .offset:         32
        .size:           8
        .value_kind:     global_buffer
      - .offset:         40
        .size:           8
        .value_kind:     by_value
      - .address_space:  global
        .offset:         48
        .size:           8
        .value_kind:     global_buffer
      - .address_space:  global
        .offset:         56
        .size:           8
        .value_kind:     global_buffer
      - .address_space:  global
        .offset:         64
        .size:           8
        .value_kind:     global_buffer
      - .address_space:  global
        .offset:         72
        .size:           8
        .value_kind:     global_buffer
      - .offset:         80
        .size:           4
        .value_kind:     by_value
      - .address_space:  global
        .offset:         88
        .size:           8
        .value_kind:     global_buffer
      - .address_space:  global
        .offset:         96
        .size:           8
        .value_kind:     global_buffer
    .group_segment_fixed_size: 30720
    .kernarg_segment_align: 8
    .kernarg_segment_size: 104
    .language:       OpenCL C
    .language_version:
      - 2
      - 0
    .max_flat_workgroup_size: 128
    .name:           bluestein_single_back_len3840_dim1_sp_op_CI_CI
    .private_segment_fixed_size: 0
    .sgpr_count:     28
    .sgpr_spill_count: 0
    .symbol:         bluestein_single_back_len3840_dim1_sp_op_CI_CI.kd
    .uniform_work_group_size: 1
    .uses_dynamic_stack: false
    .vgpr_count:     449
    .vgpr_spill_count: 0
    .wavefront_size: 64
amdhsa.target:   amdgcn-amd-amdhsa--gfx950
amdhsa.version:
  - 1
  - 2
...

	.end_amdgpu_metadata
